;; amdgpu-corpus repo=ROCm/rocFFT kind=compiled arch=gfx906 opt=O3
	.text
	.amdgcn_target "amdgcn-amd-amdhsa--gfx906"
	.amdhsa_code_object_version 6
	.protected	fft_rtc_back_len1694_factors_11_2_11_7_wgs_154_tpt_154_halfLds_dp_op_CI_CI_unitstride_sbrr_C2R_dirReg ; -- Begin function fft_rtc_back_len1694_factors_11_2_11_7_wgs_154_tpt_154_halfLds_dp_op_CI_CI_unitstride_sbrr_C2R_dirReg
	.globl	fft_rtc_back_len1694_factors_11_2_11_7_wgs_154_tpt_154_halfLds_dp_op_CI_CI_unitstride_sbrr_C2R_dirReg
	.p2align	8
	.type	fft_rtc_back_len1694_factors_11_2_11_7_wgs_154_tpt_154_halfLds_dp_op_CI_CI_unitstride_sbrr_C2R_dirReg,@function
fft_rtc_back_len1694_factors_11_2_11_7_wgs_154_tpt_154_halfLds_dp_op_CI_CI_unitstride_sbrr_C2R_dirReg: ; @fft_rtc_back_len1694_factors_11_2_11_7_wgs_154_tpt_154_halfLds_dp_op_CI_CI_unitstride_sbrr_C2R_dirReg
; %bb.0:
	s_load_dwordx4 s[8:11], s[4:5], 0x58
	s_load_dwordx4 s[12:15], s[4:5], 0x0
	;; [unrolled: 1-line block ×3, first 2 shown]
	v_mul_u32_u24_e32 v1, 0x1aa, v0
	v_add_u32_sdwa v5, s6, v1 dst_sel:DWORD dst_unused:UNUSED_PAD src0_sel:DWORD src1_sel:WORD_1
	v_mov_b32_e32 v3, 0
	s_waitcnt lgkmcnt(0)
	v_cmp_lt_u64_e64 s[0:1], s[14:15], 2
	v_mov_b32_e32 v1, 0
	v_mov_b32_e32 v6, v3
	s_and_b64 vcc, exec, s[0:1]
	v_mov_b32_e32 v2, 0
	s_cbranch_vccnz .LBB0_8
; %bb.1:
	s_load_dwordx2 s[0:1], s[4:5], 0x10
	s_add_u32 s2, s18, 8
	s_addc_u32 s3, s19, 0
	s_add_u32 s6, s16, 8
	v_mov_b32_e32 v1, 0
	s_addc_u32 s7, s17, 0
	v_mov_b32_e32 v2, 0
	s_waitcnt lgkmcnt(0)
	s_add_u32 s20, s0, 8
	v_mov_b32_e32 v57, v2
	s_addc_u32 s21, s1, 0
	s_mov_b64 s[22:23], 1
	v_mov_b32_e32 v56, v1
.LBB0_2:                                ; =>This Inner Loop Header: Depth=1
	s_load_dwordx2 s[24:25], s[20:21], 0x0
                                        ; implicit-def: $vgpr58_vgpr59
	s_waitcnt lgkmcnt(0)
	v_or_b32_e32 v4, s25, v6
	v_cmp_ne_u64_e32 vcc, 0, v[3:4]
	s_and_saveexec_b64 s[0:1], vcc
	s_xor_b64 s[26:27], exec, s[0:1]
	s_cbranch_execz .LBB0_4
; %bb.3:                                ;   in Loop: Header=BB0_2 Depth=1
	v_cvt_f32_u32_e32 v4, s24
	v_cvt_f32_u32_e32 v7, s25
	s_sub_u32 s0, 0, s24
	s_subb_u32 s1, 0, s25
	v_mac_f32_e32 v4, 0x4f800000, v7
	v_rcp_f32_e32 v4, v4
	v_mul_f32_e32 v4, 0x5f7ffffc, v4
	v_mul_f32_e32 v7, 0x2f800000, v4
	v_trunc_f32_e32 v7, v7
	v_mac_f32_e32 v4, 0xcf800000, v7
	v_cvt_u32_f32_e32 v7, v7
	v_cvt_u32_f32_e32 v4, v4
	v_mul_lo_u32 v8, s0, v7
	v_mul_hi_u32 v9, s0, v4
	v_mul_lo_u32 v11, s1, v4
	v_mul_lo_u32 v10, s0, v4
	v_add_u32_e32 v8, v9, v8
	v_add_u32_e32 v8, v8, v11
	v_mul_hi_u32 v9, v4, v10
	v_mul_lo_u32 v11, v4, v8
	v_mul_hi_u32 v13, v4, v8
	v_mul_hi_u32 v12, v7, v10
	v_mul_lo_u32 v10, v7, v10
	v_mul_hi_u32 v14, v7, v8
	v_add_co_u32_e32 v9, vcc, v9, v11
	v_addc_co_u32_e32 v11, vcc, 0, v13, vcc
	v_mul_lo_u32 v8, v7, v8
	v_add_co_u32_e32 v9, vcc, v9, v10
	v_addc_co_u32_e32 v9, vcc, v11, v12, vcc
	v_addc_co_u32_e32 v10, vcc, 0, v14, vcc
	v_add_co_u32_e32 v8, vcc, v9, v8
	v_addc_co_u32_e32 v9, vcc, 0, v10, vcc
	v_add_co_u32_e32 v4, vcc, v4, v8
	v_addc_co_u32_e32 v7, vcc, v7, v9, vcc
	v_mul_lo_u32 v8, s0, v7
	v_mul_hi_u32 v9, s0, v4
	v_mul_lo_u32 v10, s1, v4
	v_mul_lo_u32 v11, s0, v4
	v_add_u32_e32 v8, v9, v8
	v_add_u32_e32 v8, v8, v10
	v_mul_lo_u32 v12, v4, v8
	v_mul_hi_u32 v13, v4, v11
	v_mul_hi_u32 v14, v4, v8
	v_mul_hi_u32 v10, v7, v11
	v_mul_lo_u32 v11, v7, v11
	v_mul_hi_u32 v9, v7, v8
	v_add_co_u32_e32 v12, vcc, v13, v12
	v_addc_co_u32_e32 v13, vcc, 0, v14, vcc
	v_mul_lo_u32 v8, v7, v8
	v_add_co_u32_e32 v11, vcc, v12, v11
	v_addc_co_u32_e32 v10, vcc, v13, v10, vcc
	v_addc_co_u32_e32 v9, vcc, 0, v9, vcc
	v_add_co_u32_e32 v8, vcc, v10, v8
	v_addc_co_u32_e32 v9, vcc, 0, v9, vcc
	v_add_co_u32_e32 v4, vcc, v4, v8
	v_addc_co_u32_e32 v9, vcc, v7, v9, vcc
	v_mad_u64_u32 v[7:8], s[0:1], v5, v9, 0
	v_mul_hi_u32 v10, v5, v4
	v_add_co_u32_e32 v11, vcc, v10, v7
	v_addc_co_u32_e32 v12, vcc, 0, v8, vcc
	v_mad_u64_u32 v[7:8], s[0:1], v6, v4, 0
	v_mad_u64_u32 v[9:10], s[0:1], v6, v9, 0
	v_add_co_u32_e32 v4, vcc, v11, v7
	v_addc_co_u32_e32 v4, vcc, v12, v8, vcc
	v_addc_co_u32_e32 v7, vcc, 0, v10, vcc
	v_add_co_u32_e32 v4, vcc, v4, v9
	v_addc_co_u32_e32 v9, vcc, 0, v7, vcc
	v_mul_lo_u32 v10, s25, v4
	v_mul_lo_u32 v11, s24, v9
	v_mad_u64_u32 v[7:8], s[0:1], s24, v4, 0
	v_add3_u32 v8, v8, v11, v10
	v_sub_u32_e32 v10, v6, v8
	v_mov_b32_e32 v11, s25
	v_sub_co_u32_e32 v7, vcc, v5, v7
	v_subb_co_u32_e64 v10, s[0:1], v10, v11, vcc
	v_subrev_co_u32_e64 v11, s[0:1], s24, v7
	v_subbrev_co_u32_e64 v10, s[0:1], 0, v10, s[0:1]
	v_cmp_le_u32_e64 s[0:1], s25, v10
	v_cndmask_b32_e64 v12, 0, -1, s[0:1]
	v_cmp_le_u32_e64 s[0:1], s24, v11
	v_cndmask_b32_e64 v11, 0, -1, s[0:1]
	v_cmp_eq_u32_e64 s[0:1], s25, v10
	v_cndmask_b32_e64 v10, v12, v11, s[0:1]
	v_add_co_u32_e64 v11, s[0:1], 2, v4
	v_addc_co_u32_e64 v12, s[0:1], 0, v9, s[0:1]
	v_add_co_u32_e64 v13, s[0:1], 1, v4
	v_addc_co_u32_e64 v14, s[0:1], 0, v9, s[0:1]
	v_subb_co_u32_e32 v8, vcc, v6, v8, vcc
	v_cmp_ne_u32_e64 s[0:1], 0, v10
	v_cmp_le_u32_e32 vcc, s25, v8
	v_cndmask_b32_e64 v10, v14, v12, s[0:1]
	v_cndmask_b32_e64 v12, 0, -1, vcc
	v_cmp_le_u32_e32 vcc, s24, v7
	v_cndmask_b32_e64 v7, 0, -1, vcc
	v_cmp_eq_u32_e32 vcc, s25, v8
	v_cndmask_b32_e32 v7, v12, v7, vcc
	v_cmp_ne_u32_e32 vcc, 0, v7
	v_cndmask_b32_e64 v7, v13, v11, s[0:1]
	v_cndmask_b32_e32 v59, v9, v10, vcc
	v_cndmask_b32_e32 v58, v4, v7, vcc
.LBB0_4:                                ;   in Loop: Header=BB0_2 Depth=1
	s_andn2_saveexec_b64 s[0:1], s[26:27]
	s_cbranch_execz .LBB0_6
; %bb.5:                                ;   in Loop: Header=BB0_2 Depth=1
	v_cvt_f32_u32_e32 v4, s24
	s_sub_i32 s26, 0, s24
	v_mov_b32_e32 v59, v3
	v_rcp_iflag_f32_e32 v4, v4
	v_mul_f32_e32 v4, 0x4f7ffffe, v4
	v_cvt_u32_f32_e32 v4, v4
	v_mul_lo_u32 v7, s26, v4
	v_mul_hi_u32 v7, v4, v7
	v_add_u32_e32 v4, v4, v7
	v_mul_hi_u32 v4, v5, v4
	v_mul_lo_u32 v7, v4, s24
	v_add_u32_e32 v8, 1, v4
	v_sub_u32_e32 v7, v5, v7
	v_subrev_u32_e32 v9, s24, v7
	v_cmp_le_u32_e32 vcc, s24, v7
	v_cndmask_b32_e32 v7, v7, v9, vcc
	v_cndmask_b32_e32 v4, v4, v8, vcc
	v_add_u32_e32 v8, 1, v4
	v_cmp_le_u32_e32 vcc, s24, v7
	v_cndmask_b32_e32 v58, v4, v8, vcc
.LBB0_6:                                ;   in Loop: Header=BB0_2 Depth=1
	s_or_b64 exec, exec, s[0:1]
	v_mul_lo_u32 v4, v59, s24
	v_mul_lo_u32 v9, v58, s25
	v_mad_u64_u32 v[7:8], s[0:1], v58, s24, 0
	s_load_dwordx2 s[0:1], s[6:7], 0x0
	s_load_dwordx2 s[24:25], s[2:3], 0x0
	v_add3_u32 v4, v8, v9, v4
	v_sub_co_u32_e32 v5, vcc, v5, v7
	v_subb_co_u32_e32 v4, vcc, v6, v4, vcc
	s_waitcnt lgkmcnt(0)
	v_mul_lo_u32 v6, s0, v4
	v_mul_lo_u32 v7, s1, v5
	v_mad_u64_u32 v[1:2], s[0:1], s0, v5, v[1:2]
	v_mul_lo_u32 v4, s24, v4
	v_mul_lo_u32 v8, s25, v5
	v_mad_u64_u32 v[56:57], s[0:1], s24, v5, v[56:57]
	s_add_u32 s22, s22, 1
	s_addc_u32 s23, s23, 0
	s_add_u32 s2, s2, 8
	v_add3_u32 v57, v8, v57, v4
	s_addc_u32 s3, s3, 0
	v_mov_b32_e32 v4, s14
	s_add_u32 s6, s6, 8
	v_mov_b32_e32 v5, s15
	s_addc_u32 s7, s7, 0
	v_cmp_ge_u64_e32 vcc, s[22:23], v[4:5]
	s_add_u32 s20, s20, 8
	v_add3_u32 v2, v7, v2, v6
	s_addc_u32 s21, s21, 0
	s_cbranch_vccnz .LBB0_9
; %bb.7:                                ;   in Loop: Header=BB0_2 Depth=1
	v_mov_b32_e32 v5, v58
	v_mov_b32_e32 v6, v59
	s_branch .LBB0_2
.LBB0_8:
	v_mov_b32_e32 v57, v2
	v_mov_b32_e32 v59, v6
	;; [unrolled: 1-line block ×4, first 2 shown]
.LBB0_9:
	s_load_dwordx2 s[2:3], s[4:5], 0x28
	s_lshl_b64 s[6:7], s[14:15], 3
	s_add_u32 s4, s18, s6
	s_addc_u32 s5, s19, s7
                                        ; implicit-def: $vgpr60
	s_waitcnt lgkmcnt(0)
	v_cmp_gt_u64_e64 s[0:1], s[2:3], v[58:59]
	v_cmp_le_u64_e32 vcc, s[2:3], v[58:59]
	s_and_saveexec_b64 s[2:3], vcc
	s_xor_b64 s[2:3], exec, s[2:3]
; %bb.10:
	s_mov_b32 s14, 0x1a98ef7
	v_mul_hi_u32 v1, v0, s14
	v_mul_u32_u24_e32 v1, 0x9a, v1
	v_sub_u32_e32 v60, v0, v1
                                        ; implicit-def: $vgpr0
                                        ; implicit-def: $vgpr1_vgpr2
; %bb.11:
	s_or_saveexec_b64 s[2:3], s[2:3]
	s_load_dwordx2 s[4:5], s[4:5], 0x0
	s_xor_b64 exec, exec, s[2:3]
	s_cbranch_execz .LBB0_15
; %bb.12:
	s_add_u32 s6, s16, s6
	s_addc_u32 s7, s17, s7
	s_load_dwordx2 s[6:7], s[6:7], 0x0
	s_mov_b32 s14, 0x1a98ef7
	v_mul_hi_u32 v5, v0, s14
	v_lshlrev_b64 v[1:2], 4, v[1:2]
	s_waitcnt lgkmcnt(0)
	v_mul_lo_u32 v6, s7, v58
	v_mul_lo_u32 v7, s6, v59
	v_mad_u64_u32 v[3:4], s[6:7], s6, v58, 0
	v_mul_u32_u24_e32 v5, 0x9a, v5
	v_sub_u32_e32 v60, v0, v5
	v_add3_u32 v4, v4, v7, v6
	v_lshlrev_b64 v[3:4], 4, v[3:4]
	v_mov_b32_e32 v0, s9
	v_add_co_u32_e32 v3, vcc, s8, v3
	v_addc_co_u32_e32 v0, vcc, v0, v4, vcc
	v_add_co_u32_e32 v1, vcc, v3, v1
	v_addc_co_u32_e32 v0, vcc, v0, v2, vcc
	v_lshlrev_b32_e32 v49, 4, v60
	v_add_co_u32_e32 v41, vcc, v1, v49
	v_addc_co_u32_e32 v42, vcc, 0, v0, vcc
	s_movk_i32 s6, 0x1000
	v_add_co_u32_e32 v18, vcc, s6, v41
	v_addc_co_u32_e32 v19, vcc, 0, v42, vcc
	s_movk_i32 s6, 0x2000
	;; [unrolled: 3-line block ×4, first 2 shown]
	v_add_co_u32_e32 v43, vcc, s6, v41
	v_addc_co_u32_e32 v44, vcc, 0, v42, vcc
	v_add_co_u32_e32 v45, vcc, 0x5000, v41
	v_addc_co_u32_e32 v46, vcc, 0, v42, vcc
	global_load_dwordx4 v[2:5], v[41:42], off
	global_load_dwordx4 v[6:9], v[41:42], off offset:2464
	global_load_dwordx4 v[10:13], v[18:19], off offset:832
	;; [unrolled: 1-line block ×3, first 2 shown]
	s_nop 0
	global_load_dwordx4 v[18:21], v[26:27], off offset:1664
	global_load_dwordx4 v[22:25], v[34:35], off offset:32
	s_nop 0
	global_load_dwordx4 v[26:29], v[34:35], off offset:2496
	global_load_dwordx4 v[30:33], v[43:44], off offset:864
	v_add_co_u32_e32 v47, vcc, 0x6000, v41
	global_load_dwordx4 v[34:37], v[43:44], off offset:3328
	global_load_dwordx4 v[38:41], v[45:46], off offset:1696
	v_addc_co_u32_e32 v48, vcc, 0, v42, vcc
	global_load_dwordx4 v[42:45], v[47:48], off offset:64
	s_movk_i32 s6, 0x99
	v_add_u32_e32 v46, 0, v49
	v_cmp_eq_u32_e32 vcc, s6, v60
	s_waitcnt vmcnt(10)
	ds_write_b128 v46, v[2:5]
	s_waitcnt vmcnt(9)
	ds_write_b128 v46, v[6:9] offset:2464
	s_waitcnt vmcnt(8)
	ds_write_b128 v46, v[10:13] offset:4928
	;; [unrolled: 2-line block ×10, first 2 shown]
	s_and_saveexec_b64 s[6:7], vcc
	s_cbranch_execz .LBB0_14
; %bb.13:
	v_add_co_u32_e32 v1, vcc, 0x6000, v1
	v_addc_co_u32_e32 v2, vcc, 0, v0, vcc
	global_load_dwordx4 v[0:3], v[1:2], off offset:2528
	v_mov_b32_e32 v4, 0
	v_mov_b32_e32 v60, 0x99
	s_waitcnt vmcnt(0)
	ds_write_b128 v4, v[0:3] offset:27104
.LBB0_14:
	s_or_b64 exec, exec, s[6:7]
.LBB0_15:
	s_or_b64 exec, exec, s[2:3]
	v_lshlrev_b32_e32 v0, 4, v60
	v_add_u32_e32 v62, 0, v0
	s_waitcnt lgkmcnt(0)
	s_barrier
	v_sub_u32_e32 v10, 0, v0
	ds_read_b64 v[6:7], v62
	ds_read_b64 v[8:9], v10 offset:27104
	s_add_u32 s6, s12, 0x6930
	s_addc_u32 s7, s13, 0
	v_cmp_ne_u32_e32 vcc, 0, v60
                                        ; implicit-def: $vgpr4_vgpr5
	s_waitcnt lgkmcnt(0)
	v_add_f64 v[0:1], v[6:7], v[8:9]
	v_add_f64 v[2:3], v[6:7], -v[8:9]
	s_and_saveexec_b64 s[2:3], vcc
	s_xor_b64 s[2:3], exec, s[2:3]
	s_cbranch_execz .LBB0_17
; %bb.16:
	v_mov_b32_e32 v61, 0
	v_lshlrev_b64 v[0:1], 4, v[60:61]
	v_mov_b32_e32 v2, s7
	v_add_co_u32_e32 v0, vcc, s6, v0
	v_addc_co_u32_e32 v1, vcc, v2, v1, vcc
	global_load_dwordx4 v[2:5], v[0:1], off
	ds_read_b64 v[0:1], v10 offset:27112
	ds_read_b64 v[11:12], v62 offset:8
	v_add_f64 v[13:14], v[6:7], v[8:9]
	v_add_f64 v[8:9], v[6:7], -v[8:9]
	s_waitcnt lgkmcnt(0)
	v_add_f64 v[15:16], v[0:1], v[11:12]
	v_add_f64 v[0:1], v[11:12], -v[0:1]
	s_waitcnt vmcnt(0)
	v_fma_f64 v[6:7], -v[8:9], v[4:5], v[13:14]
	v_fma_f64 v[11:12], v[15:16], v[4:5], -v[0:1]
	v_fma_f64 v[13:14], v[8:9], v[4:5], v[13:14]
	v_fma_f64 v[17:18], v[15:16], v[4:5], v[0:1]
	;; [unrolled: 1-line block ×4, first 2 shown]
	v_fma_f64 v[0:1], -v[15:16], v[2:3], v[13:14]
	v_fma_f64 v[2:3], v[8:9], v[2:3], v[17:18]
	ds_write_b128 v10, v[4:7] offset:27104
	v_mov_b32_e32 v4, v60
	v_mov_b32_e32 v5, v61
.LBB0_17:
	s_andn2_saveexec_b64 s[2:3], s[2:3]
	s_cbranch_execz .LBB0_19
; %bb.18:
	v_mov_b32_e32 v8, 0
	ds_read_b128 v[4:7], v8 offset:13552
	s_waitcnt lgkmcnt(0)
	v_add_f64 v[11:12], v[4:5], v[4:5]
	v_mul_f64 v[13:14], v[6:7], -2.0
	v_mov_b32_e32 v4, 0
	v_mov_b32_e32 v5, 0
	ds_write_b128 v8, v[11:14] offset:13552
.LBB0_19:
	s_or_b64 exec, exec, s[2:3]
	v_lshlrev_b64 v[4:5], 4, v[4:5]
	v_mov_b32_e32 v6, s7
	v_add_co_u32_e32 v4, vcc, s6, v4
	v_addc_co_u32_e32 v5, vcc, v6, v5, vcc
	global_load_dwordx4 v[6:9], v[4:5], off offset:2464
	s_movk_i32 s2, 0x1000
	v_add_co_u32_e32 v19, vcc, s2, v4
	v_addc_co_u32_e32 v20, vcc, 0, v5, vcc
	global_load_dwordx4 v[11:14], v[19:20], off offset:832
	ds_write_b128 v62, v[0:3]
	ds_read_b128 v[0:3], v62 offset:2464
	ds_read_b128 v[15:18], v10 offset:24640
	global_load_dwordx4 v[19:22], v[19:20], off offset:3296
	s_movk_i32 s2, 0x2000
	s_waitcnt lgkmcnt(0)
	v_add_f64 v[23:24], v[0:1], v[15:16]
	v_add_f64 v[25:26], v[17:18], v[2:3]
	v_add_f64 v[27:28], v[0:1], -v[15:16]
	v_add_f64 v[0:1], v[2:3], -v[17:18]
	s_waitcnt vmcnt(2)
	v_fma_f64 v[2:3], v[27:28], v[8:9], v[23:24]
	v_fma_f64 v[15:16], v[25:26], v[8:9], v[0:1]
	v_fma_f64 v[17:18], -v[27:28], v[8:9], v[23:24]
	v_fma_f64 v[8:9], v[25:26], v[8:9], -v[0:1]
	v_fma_f64 v[0:1], -v[25:26], v[6:7], v[2:3]
	v_fma_f64 v[2:3], v[27:28], v[6:7], v[15:16]
	v_fma_f64 v[15:16], v[25:26], v[6:7], v[17:18]
	;; [unrolled: 1-line block ×3, first 2 shown]
	ds_write_b128 v62, v[0:3] offset:2464
	ds_write_b128 v10, v[15:18] offset:24640
	v_add_co_u32_e32 v15, vcc, s2, v4
	v_addc_co_u32_e32 v16, vcc, 0, v5, vcc
	ds_read_b128 v[0:3], v62 offset:4928
	ds_read_b128 v[6:9], v10 offset:22176
	global_load_dwordx4 v[15:18], v[15:16], off offset:1664
	s_movk_i32 s2, 0x4d
	v_cmp_gt_u32_e32 vcc, s2, v60
	s_waitcnt lgkmcnt(0)
	v_add_f64 v[23:24], v[0:1], v[6:7]
	v_add_f64 v[25:26], v[8:9], v[2:3]
	v_add_f64 v[27:28], v[0:1], -v[6:7]
	v_add_f64 v[0:1], v[2:3], -v[8:9]
	s_waitcnt vmcnt(2)
	v_fma_f64 v[2:3], v[27:28], v[13:14], v[23:24]
	v_fma_f64 v[6:7], v[25:26], v[13:14], v[0:1]
	v_fma_f64 v[8:9], -v[27:28], v[13:14], v[23:24]
	v_fma_f64 v[13:14], v[25:26], v[13:14], -v[0:1]
	v_fma_f64 v[0:1], -v[25:26], v[11:12], v[2:3]
	v_fma_f64 v[2:3], v[27:28], v[11:12], v[6:7]
	v_fma_f64 v[6:7], v[25:26], v[11:12], v[8:9]
	;; [unrolled: 1-line block ×3, first 2 shown]
	ds_write_b128 v62, v[0:3] offset:4928
	ds_write_b128 v10, v[6:9] offset:22176
	ds_read_b128 v[0:3], v62 offset:7392
	ds_read_b128 v[6:9], v10 offset:19712
	s_waitcnt lgkmcnt(0)
	v_add_f64 v[11:12], v[0:1], v[6:7]
	v_add_f64 v[13:14], v[8:9], v[2:3]
	v_add_f64 v[23:24], v[0:1], -v[6:7]
	v_add_f64 v[0:1], v[2:3], -v[8:9]
	s_waitcnt vmcnt(1)
	v_fma_f64 v[2:3], v[23:24], v[21:22], v[11:12]
	v_fma_f64 v[6:7], v[13:14], v[21:22], v[0:1]
	v_fma_f64 v[8:9], -v[23:24], v[21:22], v[11:12]
	v_fma_f64 v[11:12], v[13:14], v[21:22], -v[0:1]
	v_fma_f64 v[0:1], -v[13:14], v[19:20], v[2:3]
	v_fma_f64 v[2:3], v[23:24], v[19:20], v[6:7]
	v_fma_f64 v[6:7], v[13:14], v[19:20], v[8:9]
	;; [unrolled: 1-line block ×3, first 2 shown]
	ds_write_b128 v62, v[0:3] offset:7392
	ds_write_b128 v10, v[6:9] offset:19712
	ds_read_b128 v[0:3], v62 offset:9856
	ds_read_b128 v[6:9], v10 offset:17248
	s_waitcnt lgkmcnt(0)
	v_add_f64 v[11:12], v[0:1], v[6:7]
	v_add_f64 v[13:14], v[8:9], v[2:3]
	v_add_f64 v[19:20], v[0:1], -v[6:7]
	v_add_f64 v[0:1], v[2:3], -v[8:9]
	s_waitcnt vmcnt(0)
	v_fma_f64 v[2:3], v[19:20], v[17:18], v[11:12]
	v_fma_f64 v[6:7], v[13:14], v[17:18], v[0:1]
	v_fma_f64 v[8:9], -v[19:20], v[17:18], v[11:12]
	v_fma_f64 v[11:12], v[13:14], v[17:18], -v[0:1]
	v_fma_f64 v[0:1], -v[13:14], v[15:16], v[2:3]
	v_fma_f64 v[2:3], v[19:20], v[15:16], v[6:7]
	v_fma_f64 v[6:7], v[13:14], v[15:16], v[8:9]
	v_fma_f64 v[8:9], v[19:20], v[15:16], v[11:12]
	ds_write_b128 v62, v[0:3] offset:9856
	ds_write_b128 v10, v[6:9] offset:17248
	s_and_saveexec_b64 s[6:7], vcc
	s_cbranch_execz .LBB0_21
; %bb.20:
	s_movk_i32 s2, 0x3000
	v_add_co_u32_e64 v0, s[2:3], s2, v4
	v_addc_co_u32_e64 v1, s[2:3], 0, v5, s[2:3]
	global_load_dwordx4 v[0:3], v[0:1], off offset:32
	ds_read_b128 v[4:7], v62 offset:12320
	ds_read_b128 v[11:14], v10 offset:14784
	s_waitcnt lgkmcnt(0)
	v_add_f64 v[8:9], v[4:5], v[11:12]
	v_add_f64 v[15:16], v[13:14], v[6:7]
	v_add_f64 v[11:12], v[4:5], -v[11:12]
	v_add_f64 v[4:5], v[6:7], -v[13:14]
	s_waitcnt vmcnt(0)
	v_fma_f64 v[6:7], v[11:12], v[2:3], v[8:9]
	v_fma_f64 v[13:14], v[15:16], v[2:3], v[4:5]
	v_fma_f64 v[8:9], -v[11:12], v[2:3], v[8:9]
	v_fma_f64 v[17:18], v[15:16], v[2:3], -v[4:5]
	v_fma_f64 v[2:3], -v[15:16], v[0:1], v[6:7]
	v_fma_f64 v[4:5], v[11:12], v[0:1], v[13:14]
	v_fma_f64 v[6:7], v[15:16], v[0:1], v[8:9]
	;; [unrolled: 1-line block ×3, first 2 shown]
	ds_write_b128 v62, v[2:5] offset:12320
	ds_write_b128 v10, v[6:9] offset:14784
.LBB0_21:
	s_or_b64 exec, exec, s[6:7]
	s_waitcnt lgkmcnt(0)
	s_barrier
	s_barrier
	ds_read_b128 v[0:3], v62
	ds_read_b128 v[4:7], v62 offset:2464
	ds_read_b128 v[8:11], v62 offset:4928
	;; [unrolled: 1-line block ×3, first 2 shown]
	s_mov_b32 s18, 0xf8bb580b
	s_mov_b32 s19, 0xbfe14ced
	;; [unrolled: 1-line block ×3, first 2 shown]
	s_waitcnt lgkmcnt(2)
	v_add_f64 v[16:17], v[0:1], v[4:5]
	v_add_f64 v[18:19], v[2:3], v[6:7]
	s_mov_b32 s14, 0x8eee2c13
	s_mov_b32 s8, 0xd9c712b6
	;; [unrolled: 1-line block ×6, first 2 shown]
	s_waitcnt lgkmcnt(1)
	v_add_f64 v[32:33], v[16:17], v[8:9]
	v_add_f64 v[34:35], v[18:19], v[10:11]
	ds_read_b128 v[16:19], v62 offset:9856
	ds_read_b128 v[20:23], v62 offset:12320
	;; [unrolled: 1-line block ×4, first 2 shown]
	s_mov_b32 s15, 0xbfed1bb4
	s_mov_b32 s9, 0x3fda9628
	;; [unrolled: 1-line block ×3, first 2 shown]
	s_waitcnt lgkmcnt(1)
	v_add_f64 v[48:49], v[20:21], v[24:25]
	v_add_f64 v[52:53], v[20:21], -v[24:25]
	v_add_f64 v[44:45], v[32:33], v[12:13]
	v_add_f64 v[46:47], v[34:35], v[14:15]
	s_waitcnt lgkmcnt(0)
	v_add_f64 v[63:64], v[16:17], -v[28:29]
	ds_read_b128 v[32:35], v62 offset:19712
	ds_read_b128 v[36:39], v62 offset:22176
	;; [unrolled: 1-line block ×3, first 2 shown]
	v_add_f64 v[54:55], v[18:19], v[30:31]
	v_add_f64 v[65:66], v[18:19], -v[30:31]
	s_waitcnt lgkmcnt(2)
	v_add_f64 v[67:68], v[12:13], v[32:33]
	v_add_f64 v[69:70], v[14:15], -v[34:35]
	v_add_f64 v[44:45], v[44:45], v[16:17]
	v_add_f64 v[46:47], v[46:47], v[18:19]
	s_waitcnt lgkmcnt(1)
	v_add_f64 v[71:72], v[8:9], v[36:37]
	s_mov_b32 s17, 0xbfe82f19
	s_mov_b32 s29, 0xbfd207e7
	v_add_f64 v[50:51], v[22:23], v[26:27]
	v_add_f64 v[73:74], v[10:11], v[38:39]
	s_mov_b32 s6, 0x640f44db
	v_add_f64 v[44:45], v[44:45], v[20:21]
	v_add_f64 v[46:47], v[46:47], v[22:23]
	s_mov_b32 s22, 0x7f775887
	s_mov_b32 s34, 0x9bcd5057
	s_mov_b32 s7, 0xbfc2375f
	s_mov_b32 s23, 0xbfe4f49e
	s_mov_b32 s35, 0xbfeeb42a
	s_mov_b32 s31, 0x3fe14ced
	v_add_f64 v[20:21], v[44:45], v[24:25]
	v_add_f64 v[24:25], v[46:47], v[26:27]
	;; [unrolled: 1-line block ×3, first 2 shown]
	v_add_f64 v[44:45], v[22:23], -v[26:27]
	s_mov_b32 s30, s18
	s_mov_b32 s25, 0x3fed1bb4
	;; [unrolled: 1-line block ×4, first 2 shown]
	v_add_f64 v[16:17], v[20:21], v[28:29]
	v_add_f64 v[18:19], v[24:25], v[30:31]
	;; [unrolled: 1-line block ×3, first 2 shown]
	v_add_f64 v[30:31], v[12:13], -v[32:33]
	s_waitcnt lgkmcnt(0)
	v_add_f64 v[12:13], v[6:7], -v[42:43]
	v_add_f64 v[6:7], v[6:7], v[42:43]
	s_mov_b32 s26, s2
	s_mov_b32 s37, 0x3fe82f19
	v_add_f64 v[14:15], v[16:17], v[32:33]
	v_add_f64 v[16:17], v[18:19], v[34:35]
	v_add_f64 v[32:33], v[8:9], -v[36:37]
	v_add_f64 v[18:19], v[4:5], v[40:41]
	v_mul_f64 v[8:9], v[12:13], s[18:19]
	v_add_f64 v[34:35], v[10:11], -v[38:39]
	v_mul_f64 v[10:11], v[12:13], s[14:15]
	v_add_f64 v[4:5], v[4:5], -v[40:41]
	v_add_f64 v[14:15], v[14:15], v[36:37]
	v_add_f64 v[16:17], v[16:17], v[38:39]
	v_mul_f64 v[20:21], v[12:13], s[2:3]
	v_mul_f64 v[75:76], v[6:7], s[8:9]
	v_fma_f64 v[22:23], v[18:19], s[20:21], v[8:9]
	v_fma_f64 v[24:25], v[18:19], s[20:21], -v[8:9]
	v_fma_f64 v[26:27], v[18:19], s[8:9], v[10:11]
	v_fma_f64 v[36:37], v[18:19], s[8:9], -v[10:11]
	v_add_f64 v[8:9], v[14:15], v[40:41]
	v_mul_f64 v[14:15], v[12:13], s[16:17]
	v_mul_f64 v[12:13], v[12:13], s[28:29]
	;; [unrolled: 1-line block ×3, first 2 shown]
	v_add_f64 v[10:11], v[16:17], v[42:43]
	v_fma_f64 v[16:17], v[18:19], s[6:7], v[20:21]
	v_fma_f64 v[20:21], v[18:19], s[6:7], -v[20:21]
	v_mul_f64 v[77:78], v[6:7], s[6:7]
	v_fma_f64 v[79:80], v[4:5], s[24:25], v[75:76]
	v_fma_f64 v[38:39], v[18:19], s[22:23], v[14:15]
	v_fma_f64 v[14:15], v[18:19], s[22:23], -v[14:15]
	v_fma_f64 v[42:43], v[18:19], s[34:35], v[12:13]
	v_fma_f64 v[12:13], v[18:19], s[34:35], -v[12:13]
	v_fma_f64 v[18:19], v[4:5], s[30:31], v[40:41]
	v_fma_f64 v[40:41], v[4:5], s[18:19], v[40:41]
	v_mul_f64 v[81:82], v[6:7], s[22:23]
	v_mul_f64 v[6:7], v[6:7], s[34:35]
	s_mov_b32 s36, s16
	s_mov_b32 s39, 0x3fd207e7
	;; [unrolled: 1-line block ×3, first 2 shown]
	v_fma_f64 v[75:76], v[4:5], s[14:15], v[75:76]
	v_fma_f64 v[83:84], v[4:5], s[26:27], v[77:78]
	;; [unrolled: 1-line block ×7, first 2 shown]
	v_add_f64 v[6:7], v[0:1], v[22:23]
	v_add_f64 v[22:23], v[0:1], v[24:25]
	;; [unrolled: 1-line block ×4, first 2 shown]
	v_mul_f64 v[79:80], v[34:35], s[14:15]
	v_mul_f64 v[89:90], v[73:74], s[8:9]
	v_add_f64 v[18:19], v[2:3], v[18:19]
	v_mul_f64 v[95:96], v[69:70], s[2:3]
	v_mul_f64 v[97:98], v[28:29], s[6:7]
	v_add_f64 v[99:100], v[0:1], v[14:15]
	v_mul_f64 v[101:102], v[54:55], s[22:23]
	v_add_f64 v[26:27], v[0:1], v[26:27]
	v_fma_f64 v[91:92], v[71:72], s[8:9], v[79:80]
	v_fma_f64 v[93:94], v[32:33], s[24:25], v[89:90]
	v_add_f64 v[36:37], v[0:1], v[36:37]
	v_add_f64 v[75:76], v[2:3], v[75:76]
	;; [unrolled: 1-line block ×8, first 2 shown]
	v_fma_f64 v[18:19], v[67:68], s[6:7], v[95:96]
	v_fma_f64 v[91:92], v[30:31], s[26:27], v[97:98]
	v_mul_f64 v[93:94], v[65:66], s[16:17]
	v_add_f64 v[38:39], v[0:1], v[38:39]
	v_add_f64 v[85:86], v[2:3], v[85:86]
	;; [unrolled: 1-line block ×7, first 2 shown]
	v_fma_f64 v[0:1], v[71:72], s[8:9], -v[79:80]
	v_fma_f64 v[2:3], v[32:33], s[14:15], v[89:90]
	v_add_f64 v[4:5], v[18:19], v[6:7]
	v_add_f64 v[6:7], v[91:92], v[14:15]
	v_fma_f64 v[12:13], v[46:47], s[22:23], v[93:94]
	v_fma_f64 v[14:15], v[63:64], s[36:37], v[101:102]
	v_mul_f64 v[18:19], v[44:45], s[28:29]
	v_mul_f64 v[79:80], v[50:51], s[34:35]
	v_add_f64 v[0:1], v[0:1], v[22:23]
	v_add_f64 v[2:3], v[2:3], v[24:25]
	v_fma_f64 v[22:23], v[67:68], s[6:7], -v[95:96]
	v_fma_f64 v[24:25], v[30:31], s[2:3], v[97:98]
	v_add_f64 v[4:5], v[12:13], v[4:5]
	v_add_f64 v[6:7], v[14:15], v[6:7]
	v_fma_f64 v[12:13], v[48:49], s[34:35], v[18:19]
	v_fma_f64 v[14:15], v[52:53], s[38:39], v[79:80]
	v_mul_f64 v[89:90], v[34:35], s[16:17]
	v_mul_f64 v[91:92], v[73:74], s[22:23]
	v_add_f64 v[22:23], v[22:23], v[0:1]
	v_add_f64 v[24:25], v[24:25], v[2:3]
	;; [unrolled: 10-line block ×7, first 2 shown]
	v_fma_f64 v[89:90], v[48:49], s[20:21], -v[89:90]
	v_fma_f64 v[91:92], v[52:53], s[30:31], v[91:92]
	v_add_f64 v[24:25], v[24:25], v[16:17]
	v_add_f64 v[26:27], v[26:27], v[83:84]
	v_fma_f64 v[83:84], v[67:68], s[8:9], v[36:37]
	v_mul_f64 v[95:96], v[65:66], s[18:19]
	v_fma_f64 v[93:94], v[30:31], s[14:15], v[40:41]
	v_mul_f64 v[97:98], v[54:55], s[20:21]
	v_add_f64 v[16:17], v[89:90], v[18:19]
	v_add_f64 v[18:19], v[91:92], v[22:23]
	v_fma_f64 v[22:23], v[71:72], s[34:35], -v[75:76]
	v_fma_f64 v[75:76], v[32:33], s[38:39], v[79:80]
	v_add_f64 v[24:25], v[83:84], v[24:25]
	v_fma_f64 v[79:80], v[46:47], s[20:21], v[95:96]
	v_mul_f64 v[89:90], v[44:45], s[16:17]
	v_add_f64 v[26:27], v[93:94], v[26:27]
	v_fma_f64 v[83:84], v[63:64], s[30:31], v[97:98]
	v_mul_f64 v[91:92], v[50:51], s[22:23]
	v_add_f64 v[20:21], v[22:23], v[20:21]
	v_add_f64 v[22:23], v[75:76], v[77:78]
	v_fma_f64 v[36:37], v[67:68], s[8:9], -v[36:37]
	v_fma_f64 v[40:41], v[30:31], s[24:25], v[40:41]
	v_add_f64 v[24:25], v[79:80], v[24:25]
	v_fma_f64 v[75:76], v[48:49], s[22:23], v[89:90]
	v_mul_f64 v[77:78], v[34:35], s[26:27]
	v_mul_f64 v[79:80], v[73:74], s[6:7]
	v_add_f64 v[26:27], v[83:84], v[26:27]
	v_fma_f64 v[83:84], v[52:53], s[36:37], v[91:92]
	v_add_f64 v[36:37], v[36:37], v[20:21]
	v_add_f64 v[40:41], v[40:41], v[22:23]
	v_fma_f64 v[93:94], v[46:47], s[20:21], -v[95:96]
	v_fma_f64 v[95:96], v[63:64], s[18:19], v[97:98]
	v_add_f64 v[20:21], v[75:76], v[24:25]
	v_fma_f64 v[24:25], v[71:72], s[6:7], v[77:78]
	v_fma_f64 v[75:76], v[32:33], s[2:3], v[79:80]
	v_mul_f64 v[97:98], v[69:70], s[18:19]
	v_mul_f64 v[101:102], v[28:29], s[20:21]
	v_add_f64 v[22:23], v[83:84], v[26:27]
	v_add_f64 v[26:27], v[93:94], v[36:37]
	;; [unrolled: 1-line block ×3, first 2 shown]
	v_fma_f64 v[40:41], v[48:49], s[22:23], -v[89:90]
	v_add_f64 v[38:39], v[24:25], v[38:39]
	v_add_f64 v[75:76], v[75:76], v[85:86]
	v_fma_f64 v[83:84], v[67:68], s[20:21], v[97:98]
	v_fma_f64 v[85:86], v[30:31], s[30:31], v[101:102]
	v_mul_f64 v[89:90], v[65:66], s[28:29]
	v_fma_f64 v[77:78], v[71:72], s[6:7], -v[77:78]
	v_fma_f64 v[91:92], v[52:53], s[16:17], v[91:92]
	v_fma_f64 v[79:80], v[32:33], s[26:27], v[79:80]
	v_mul_f64 v[93:94], v[54:55], s[34:35]
	v_add_f64 v[24:25], v[40:41], v[26:27]
	v_add_f64 v[38:39], v[83:84], v[38:39]
	;; [unrolled: 1-line block ×3, first 2 shown]
	v_fma_f64 v[75:76], v[46:47], s[34:35], v[89:90]
	v_add_f64 v[77:78], v[77:78], v[99:100]
	v_fma_f64 v[83:84], v[67:68], s[20:21], -v[97:98]
	v_add_f64 v[79:80], v[79:80], v[81:82]
	v_fma_f64 v[81:82], v[30:31], s[18:19], v[101:102]
	v_add_f64 v[26:27], v[91:92], v[36:37]
	v_mul_f64 v[36:37], v[73:74], s[20:21]
	v_mul_f64 v[34:35], v[34:35], s[30:31]
	v_add_f64 v[38:39], v[75:76], v[38:39]
	v_fma_f64 v[75:76], v[46:47], s[34:35], -v[89:90]
	v_add_f64 v[73:74], v[83:84], v[77:78]
	v_mul_f64 v[28:29], v[28:29], s[22:23]
	v_add_f64 v[77:78], v[81:82], v[79:80]
	v_fma_f64 v[79:80], v[63:64], s[28:29], v[93:94]
	v_fma_f64 v[83:84], v[32:33], s[18:19], v[36:37]
	;; [unrolled: 1-line block ×3, first 2 shown]
	v_fma_f64 v[34:35], v[71:72], s[20:21], -v[34:35]
	v_mul_f64 v[69:70], v[69:70], s[16:17]
	v_fma_f64 v[32:33], v[32:33], s[30:31], v[36:37]
	v_add_f64 v[71:72], v[75:76], v[73:74]
	v_mul_f64 v[65:66], v[65:66], s[24:25]
	v_add_f64 v[36:37], v[79:80], v[77:78]
	v_add_f64 v[73:74], v[83:84], v[87:88]
	v_fma_f64 v[79:80], v[30:31], s[36:37], v[28:29]
	v_add_f64 v[42:43], v[81:82], v[42:43]
	v_add_f64 v[34:35], v[34:35], v[103:104]
	v_fma_f64 v[75:76], v[67:68], s[22:23], v[69:70]
	v_add_f64 v[32:33], v[32:33], v[105:106]
	v_fma_f64 v[67:68], v[67:68], s[22:23], -v[69:70]
	v_fma_f64 v[28:29], v[30:31], s[16:17], v[28:29]
	v_mul_f64 v[30:31], v[54:55], s[8:9]
	v_fma_f64 v[85:86], v[63:64], s[38:39], v[93:94]
	v_mul_f64 v[77:78], v[44:45], s[24:25]
	v_add_f64 v[69:70], v[79:80], v[73:74]
	v_mul_f64 v[73:74], v[50:51], s[8:9]
	v_add_f64 v[42:43], v[75:76], v[42:43]
	v_add_f64 v[34:35], v[67:68], v[34:35]
	v_fma_f64 v[67:68], v[46:47], s[8:9], v[65:66]
	v_add_f64 v[28:29], v[28:29], v[32:33]
	v_fma_f64 v[32:33], v[63:64], s[14:15], v[30:31]
	v_mul_f64 v[44:45], v[44:45], s[2:3]
	v_mul_f64 v[50:51], v[50:51], s[6:7]
	v_fma_f64 v[46:47], v[46:47], s[8:9], -v[65:66]
	v_fma_f64 v[30:31], v[63:64], s[24:25], v[30:31]
	v_add_f64 v[40:41], v[85:86], v[40:41]
	v_fma_f64 v[54:55], v[48:49], s[8:9], v[77:78]
	v_fma_f64 v[65:66], v[52:53], s[14:15], v[73:74]
	;; [unrolled: 1-line block ×3, first 2 shown]
	v_add_f64 v[42:43], v[67:68], v[42:43]
	v_add_f64 v[67:68], v[32:33], v[69:70]
	v_fma_f64 v[69:70], v[48:49], s[6:7], v[44:45]
	v_fma_f64 v[75:76], v[52:53], s[26:27], v[50:51]
	v_fma_f64 v[63:64], v[48:49], s[8:9], -v[77:78]
	v_add_f64 v[46:47], v[46:47], v[34:35]
	v_add_f64 v[77:78], v[30:31], v[28:29]
	v_fma_f64 v[44:45], v[48:49], s[6:7], -v[44:45]
	v_fma_f64 v[48:49], v[52:53], s[2:3], v[50:51]
	v_add_f64 v[28:29], v[54:55], v[38:39]
	v_add_f64 v[30:31], v[65:66], v[40:41]
	;; [unrolled: 1-line block ×5, first 2 shown]
	s_movk_i32 s2, 0xa0
	v_add_f64 v[40:41], v[44:45], v[46:47]
	v_add_f64 v[42:43], v[48:49], v[77:78]
	;; [unrolled: 1-line block ×3, first 2 shown]
	v_mad_u32_u24 v44, v60, s2, v62
	s_barrier
	ds_write_b128 v44, v[8:11]
	ds_write_b128 v44, v[0:3] offset:16
	ds_write_b128 v44, v[12:15] offset:32
	;; [unrolled: 1-line block ×10, first 2 shown]
	s_waitcnt lgkmcnt(0)
	s_barrier
	ds_read_b128 v[8:11], v62
	ds_read_b128 v[12:15], v62 offset:2464
	ds_read_b128 v[0:3], v62 offset:16016
	;; [unrolled: 1-line block ×9, first 2 shown]
                                        ; implicit-def: $vgpr46_vgpr47
	s_and_saveexec_b64 s[2:3], vcc
	s_cbranch_execz .LBB0_23
; %bb.22:
	s_movk_i32 s6, 0xff60
	v_mad_i32_i24 v4, v60, s6, v44
	ds_read_b128 v[4:7], v4 offset:12320
	ds_read_b128 v[44:47], v62 offset:25872
.LBB0_23:
	s_or_b64 exec, exec, s[2:3]
	s_movk_i32 s2, 0x75
	v_mul_lo_u16_sdwa v48, v60, s2 dst_sel:DWORD dst_unused:UNUSED_PAD src0_sel:BYTE_0 src1_sel:DWORD
	v_sub_u16_sdwa v51, v60, v48 dst_sel:DWORD dst_unused:UNUSED_PAD src0_sel:DWORD src1_sel:BYTE_1
	v_lshrrev_b16_e32 v51, 1, v51
	v_and_b32_e32 v51, 0x7f, v51
	v_add_u16_sdwa v48, v51, v48 dst_sel:DWORD dst_unused:UNUSED_PAD src0_sel:DWORD src1_sel:BYTE_1
	v_lshrrev_b16_e32 v83, 3, v48
	v_mul_lo_u16_e32 v48, 11, v83
	v_add_u32_e32 v61, 0x9a, v60
	v_sub_u16_e32 v51, v60, v48
	v_mov_b32_e32 v48, 4
	s_mov_b32 s2, 0xba2f
	v_add_u32_e32 v49, 0x134, v60
	v_lshlrev_b32_sdwa v84, v48, v51 dst_sel:DWORD dst_unused:UNUSED_PAD src0_sel:DWORD src1_sel:BYTE_0
	v_mul_u32_u24_sdwa v51, v61, s2 dst_sel:DWORD dst_unused:UNUSED_PAD src0_sel:WORD_0 src1_sel:DWORD
	v_lshrrev_b32_e32 v85, 19, v51
	v_mul_u32_u24_sdwa v51, v49, s2 dst_sel:DWORD dst_unused:UNUSED_PAD src0_sel:WORD_0 src1_sel:DWORD
	v_lshrrev_b32_e32 v86, 19, v51
	v_mul_lo_u16_e32 v51, 11, v86
	v_add_u32_e32 v50, 0x1ce, v60
	v_sub_u16_e32 v49, v49, v51
	v_lshlrev_b32_e32 v87, 4, v49
	v_mul_u32_u24_sdwa v49, v50, s2 dst_sel:DWORD dst_unused:UNUSED_PAD src0_sel:WORD_0 src1_sel:DWORD
	v_lshrrev_b32_e32 v88, 19, v49
	v_mul_lo_u16_e32 v49, 11, v88
	v_add_u32_e32 v55, 0x268, v60
	v_sub_u16_e32 v49, v50, v49
	v_lshlrev_b32_e32 v89, 4, v49
	;; [unrolled: 6-line block ×3, first 2 shown]
	v_mul_u32_u24_sdwa v49, v67, s2 dst_sel:DWORD dst_unused:UNUSED_PAD src0_sel:WORD_0 src1_sel:DWORD
	v_lshrrev_b32_e32 v49, 19, v49
	v_mul_lo_u16_e32 v50, 11, v49
	v_mul_lo_u16_e32 v75, 11, v85
	v_sub_u16_e32 v50, v67, v50
	v_lshlrev_b32_e32 v50, 4, v50
	v_sub_u16_e32 v79, v61, v75
	global_load_dwordx4 v[51:54], v87, s[12:13]
	global_load_dwordx4 v[63:66], v89, s[12:13]
	;; [unrolled: 1-line block ×5, first 2 shown]
	v_lshlrev_b32_e32 v91, 4, v79
	global_load_dwordx4 v[79:82], v91, s[12:13]
	v_mul_u32_u24_e32 v85, 0x160, v85
	v_mul_u32_u24_e32 v86, 0x160, v86
	;; [unrolled: 1-line block ×5, first 2 shown]
	v_add3_u32 v95, 0, v85, v91
	v_add3_u32 v96, 0, v86, v87
	v_add3_u32 v97, 0, v88, v89
	v_add3_u32 v55, 0, v90, v55
	v_add3_u32 v98, 0, v83, v84
	s_waitcnt vmcnt(0) lgkmcnt(0)
	s_barrier
	v_mul_f64 v[83:84], v[34:35], v[53:54]
	v_mul_f64 v[53:54], v[32:33], v[53:54]
	;; [unrolled: 1-line block ×12, first 2 shown]
	v_fma_f64 v[32:33], v[32:33], v[51:52], v[83:84]
	v_fma_f64 v[34:35], v[34:35], v[51:52], -v[53:54]
	v_fma_f64 v[40:41], v[40:41], v[63:64], v[85:86]
	v_fma_f64 v[42:43], v[42:43], v[63:64], -v[65:66]
	;; [unrolled: 2-line block ×6, first 2 shown]
	v_add_f64 v[28:29], v[20:21], -v[32:33]
	v_add_f64 v[30:31], v[22:23], -v[34:35]
	;; [unrolled: 1-line block ×12, first 2 shown]
	v_fma_f64 v[8:9], v[8:9], 2.0, -v[40:41]
	v_fma_f64 v[10:11], v[10:11], 2.0, -v[42:43]
	;; [unrolled: 1-line block ×10, first 2 shown]
	ds_write_b128 v98, v[40:43] offset:176
	ds_write_b128 v98, v[8:11]
	ds_write_b128 v95, v[12:15]
	ds_write_b128 v95, v[44:47] offset:176
	ds_write_b128 v96, v[20:23]
	ds_write_b128 v96, v[28:31] offset:176
	ds_write_b128 v97, v[16:19]
	ds_write_b128 v97, v[32:35] offset:176
	ds_write_b128 v55, v[24:27]
	ds_write_b128 v55, v[36:39] offset:176
	s_and_saveexec_b64 s[2:3], vcc
	s_cbranch_execz .LBB0_25
; %bb.24:
	v_fma_f64 v[6:7], v[6:7], 2.0, -v[2:3]
	v_fma_f64 v[4:5], v[4:5], 2.0, -v[0:1]
	v_mul_lo_u16_e32 v8, 22, v49
	v_lshlrev_b32_e32 v8, 4, v8
	v_add3_u32 v8, 0, v50, v8
	ds_write_b128 v8, v[4:7]
	ds_write_b128 v8, v[0:3] offset:176
.LBB0_25:
	s_or_b64 exec, exec, s[2:3]
	v_lshrrev_b16_e32 v4, 1, v60
	v_and_b32_e32 v4, 0x7f, v4
	v_mul_lo_u16_e32 v4, 0xbb, v4
	v_lshrrev_b16_e32 v20, 11, v4
	v_mul_lo_u16_e32 v4, 22, v20
	v_sub_u16_e32 v21, v60, v4
	v_mov_b32_e32 v4, 10
	v_mul_u32_u24_sdwa v4, v21, v4 dst_sel:DWORD dst_unused:UNUSED_PAD src0_sel:BYTE_0 src1_sel:DWORD
	v_lshlrev_b32_e32 v46, 4, v4
	s_waitcnt lgkmcnt(0)
	s_barrier
	global_load_dwordx4 v[4:7], v46, s[12:13] offset:176
	global_load_dwordx4 v[8:11], v46, s[12:13] offset:192
	;; [unrolled: 1-line block ×10, first 2 shown]
	ds_read_b128 v[49:52], v62
	ds_read_b128 v[63:66], v62 offset:2464
	ds_read_b128 v[67:70], v62 offset:4928
	;; [unrolled: 1-line block ×10, first 2 shown]
	s_mov_b32 s24, 0xf8bb580b
	s_mov_b32 s8, 0x43842ef
	;; [unrolled: 1-line block ×29, first 2 shown]
	v_mul_u32_u24_e32 v20, 0xf20, v20
	v_lshlrev_b32_sdwa v21, v48, v21 dst_sel:DWORD dst_unused:UNUSED_PAD src0_sel:DWORD src1_sel:BYTE_0
	v_add3_u32 v20, 0, v20, v21
	s_waitcnt vmcnt(0) lgkmcnt(0)
	s_barrier
	v_mul_f64 v[46:47], v[65:66], v[6:7]
	v_mul_f64 v[6:7], v[63:64], v[6:7]
	;; [unrolled: 1-line block ×11, first 2 shown]
	v_fma_f64 v[46:47], v[63:64], v[4:5], v[46:47]
	v_fma_f64 v[4:5], v[65:66], v[4:5], -v[6:7]
	v_mul_f64 v[6:7], v[95:96], v[40:41]
	v_mul_f64 v[40:41], v[101:102], v[44:45]
	;; [unrolled: 1-line block ×8, first 2 shown]
	v_fma_f64 v[53:54], v[67:68], v[8:9], v[53:54]
	v_fma_f64 v[8:9], v[69:70], v[8:9], -v[10:11]
	v_fma_f64 v[10:11], v[71:72], v[12:13], v[103:104]
	v_fma_f64 v[12:13], v[73:74], v[12:13], -v[14:15]
	;; [unrolled: 2-line block ×4, first 2 shown]
	v_fma_f64 v[22:23], v[99:100], v[42:43], v[40:41]
	v_add_f64 v[40:41], v[51:52], v[4:5]
	v_fma_f64 v[65:66], v[83:84], v[26:27], v[109:110]
	v_fma_f64 v[26:27], v[85:86], v[26:27], -v[28:29]
	v_fma_f64 v[28:29], v[87:88], v[30:31], v[111:112]
	v_fma_f64 v[30:31], v[89:90], v[30:31], -v[32:33]
	;; [unrolled: 2-line block ×4, first 2 shown]
	v_add_f64 v[38:39], v[49:50], v[46:47]
	v_add_f64 v[40:41], v[40:41], v[8:9]
	v_mul_f64 v[44:45], v[99:100], v[44:45]
	v_add_f64 v[67:68], v[53:54], v[36:37]
	v_add_f64 v[69:70], v[8:9], v[6:7]
	;; [unrolled: 1-line block ×4, first 2 shown]
	v_fma_f64 v[24:25], v[101:102], v[42:43], -v[44:45]
	v_add_f64 v[42:43], v[46:47], v[22:23]
	v_add_f64 v[8:9], v[8:9], -v[6:7]
	v_add_f64 v[46:47], v[46:47], -v[22:23]
	;; [unrolled: 1-line block ×3, first 2 shown]
	v_mul_f64 v[89:90], v[69:70], s[6:7]
	v_add_f64 v[38:39], v[38:39], v[10:11]
	v_add_f64 v[40:41], v[40:41], v[16:17]
	;; [unrolled: 1-line block ×3, first 2 shown]
	v_add_f64 v[4:5], v[4:5], -v[24:25]
	v_mul_f64 v[87:88], v[8:9], s[2:3]
	v_add_f64 v[38:39], v[38:39], v[14:15]
	v_add_f64 v[40:41], v[40:41], v[63:64]
	v_mul_f64 v[73:74], v[44:45], s[18:19]
	v_mul_f64 v[71:72], v[4:5], s[24:25]
	v_mul_f64 v[79:80], v[4:5], s[8:9]
	v_mul_f64 v[83:84], v[4:5], s[26:27]
	v_mul_f64 v[75:76], v[4:5], s[2:3]
	v_mul_f64 v[77:78], v[44:45], s[6:7]
	v_add_f64 v[38:39], v[38:39], v[18:19]
	v_add_f64 v[40:41], v[40:41], v[26:27]
	v_mul_f64 v[81:82], v[44:45], s[16:17]
	v_mul_f64 v[85:86], v[44:45], s[28:29]
	v_mul_f64 v[4:5], v[4:5], s[34:35]
	v_mul_f64 v[44:45], v[44:45], s[36:37]
	v_fma_f64 v[91:92], v[42:43], s[18:19], v[71:72]
	v_fma_f64 v[99:100], v[42:43], s[16:17], v[79:80]
	v_add_f64 v[38:39], v[38:39], v[65:66]
	v_add_f64 v[40:41], v[40:41], v[30:31]
	v_fma_f64 v[79:80], v[42:43], s[16:17], -v[79:80]
	v_fma_f64 v[103:104], v[42:43], s[28:29], v[83:84]
	v_fma_f64 v[93:94], v[46:47], s[22:23], v[73:74]
	v_fma_f64 v[71:72], v[42:43], s[18:19], -v[71:72]
	v_fma_f64 v[95:96], v[42:43], s[6:7], v[75:76]
	v_fma_f64 v[75:76], v[42:43], s[6:7], -v[75:76]
	v_add_f64 v[38:39], v[38:39], v[28:29]
	v_add_f64 v[40:41], v[40:41], v[34:35]
	v_fma_f64 v[101:102], v[46:47], s[20:21], v[81:82]
	v_fma_f64 v[81:82], v[46:47], s[8:9], v[81:82]
	;; [unrolled: 1-line block ×3, first 2 shown]
	v_fma_f64 v[83:84], v[42:43], s[28:29], -v[83:84]
	v_fma_f64 v[107:108], v[42:43], s[36:37], v[4:5]
	v_fma_f64 v[109:110], v[46:47], s[38:39], v[44:45]
	v_add_f64 v[38:39], v[38:39], v[32:33]
	v_add_f64 v[6:7], v[40:41], v[6:7]
	;; [unrolled: 1-line block ×3, first 2 shown]
	v_fma_f64 v[4:5], v[42:43], s[36:37], -v[4:5]
	v_fma_f64 v[73:74], v[46:47], s[24:25], v[73:74]
	v_fma_f64 v[97:98], v[46:47], s[14:15], v[77:78]
	;; [unrolled: 1-line block ×4, first 2 shown]
	v_add_f64 v[36:37], v[38:39], v[36:37]
	v_add_f64 v[38:39], v[49:50], v[79:80]
	;; [unrolled: 1-line block ×4, first 2 shown]
	v_fma_f64 v[6:7], v[46:47], s[34:35], v[44:45]
	v_mul_f64 v[44:45], v[8:9], s[26:27]
	v_fma_f64 v[103:104], v[67:68], s[6:7], v[87:88]
	v_add_f64 v[93:94], v[51:52], v[93:94]
	v_add_f64 v[71:72], v[49:50], v[71:72]
	;; [unrolled: 1-line block ×10, first 2 shown]
	v_mul_f64 v[46:47], v[69:70], s[28:29]
	v_fma_f64 v[105:106], v[53:54], s[14:15], v[89:90]
	v_add_f64 v[4:5], v[49:50], v[4:5]
	v_fma_f64 v[49:50], v[67:68], s[6:7], -v[87:88]
	v_fma_f64 v[87:88], v[67:68], s[28:29], v[44:45]
	v_add_f64 v[91:92], v[103:104], v[91:92]
	v_mul_f64 v[103:104], v[8:9], s[38:39]
	v_add_f64 v[73:74], v[51:52], v[73:74]
	v_add_f64 v[97:98], v[51:52], v[97:98]
	;; [unrolled: 1-line block ×7, first 2 shown]
	v_fma_f64 v[51:52], v[53:54], s[2:3], v[89:90]
	v_fma_f64 v[89:90], v[53:54], s[30:31], v[46:47]
	v_add_f64 v[93:94], v[105:106], v[93:94]
	v_mul_f64 v[105:106], v[69:70], s[36:37]
	v_add_f64 v[49:50], v[49:50], v[71:72]
	v_add_f64 v[71:72], v[87:88], v[95:96]
	v_fma_f64 v[44:45], v[67:68], s[28:29], -v[44:45]
	v_fma_f64 v[87:88], v[67:68], s[36:37], v[103:104]
	v_mul_f64 v[95:96], v[8:9], s[20:21]
	v_add_f64 v[51:52], v[51:52], v[73:74]
	v_add_f64 v[73:74], v[89:90], v[97:98]
	v_fma_f64 v[46:47], v[53:54], s[26:27], v[46:47]
	v_fma_f64 v[89:90], v[53:54], s[34:35], v[105:106]
	v_mul_f64 v[97:98], v[69:70], s[16:17]
	v_add_f64 v[44:45], v[44:45], v[75:76]
	v_add_f64 v[75:76], v[87:88], v[99:100]
	v_fma_f64 v[87:88], v[67:68], s[16:17], v[95:96]
	v_fma_f64 v[95:96], v[67:68], s[16:17], -v[95:96]
	v_mul_f64 v[8:9], v[8:9], s[22:23]
	v_add_f64 v[46:47], v[46:47], v[77:78]
	v_add_f64 v[77:78], v[89:90], v[101:102]
	v_fma_f64 v[89:90], v[53:54], s[8:9], v[97:98]
	v_fma_f64 v[97:98], v[53:54], s[20:21], v[97:98]
	v_mul_f64 v[69:70], v[69:70], s[18:19]
	v_add_f64 v[79:80], v[87:88], v[79:80]
	v_add_f64 v[87:88], v[12:13], -v[34:35]
	v_add_f64 v[12:13], v[12:13], v[34:35]
	v_add_f64 v[34:35], v[95:96], v[83:84]
	;; [unrolled: 1-line block ×3, first 2 shown]
	v_add_f64 v[10:11], v[10:11], -v[32:33]
	v_add_f64 v[83:84], v[97:98], v[85:86]
	v_fma_f64 v[85:86], v[67:68], s[18:19], v[8:9]
	v_fma_f64 v[103:104], v[67:68], s[36:37], -v[103:104]
	v_mul_f64 v[32:33], v[87:88], s[8:9]
	v_fma_f64 v[105:106], v[53:54], s[38:39], v[105:106]
	v_add_f64 v[81:82], v[89:90], v[81:82]
	v_fma_f64 v[89:90], v[53:54], s[24:25], v[69:70]
	v_mul_f64 v[97:98], v[12:13], s[16:17]
	v_fma_f64 v[8:9], v[67:68], s[18:19], -v[8:9]
	v_fma_f64 v[53:54], v[53:54], s[22:23], v[69:70]
	v_add_f64 v[36:37], v[85:86], v[36:37]
	v_mul_f64 v[67:68], v[87:88], s[38:39]
	v_mul_f64 v[69:70], v[12:13], s[36:37]
	v_fma_f64 v[85:86], v[95:96], s[16:17], v[32:33]
	v_add_f64 v[42:43], v[89:90], v[42:43]
	v_fma_f64 v[89:90], v[10:11], s[20:21], v[97:98]
	v_add_f64 v[4:5], v[8:9], v[4:5]
	v_add_f64 v[6:7], v[53:54], v[6:7]
	v_fma_f64 v[8:9], v[95:96], s[16:17], -v[32:33]
	v_fma_f64 v[32:33], v[10:11], s[8:9], v[97:98]
	v_fma_f64 v[53:54], v[95:96], s[36:37], v[67:68]
	;; [unrolled: 1-line block ×3, first 2 shown]
	v_add_f64 v[85:86], v[85:86], v[91:92]
	v_mul_f64 v[91:92], v[87:88], s[14:15]
	v_add_f64 v[89:90], v[89:90], v[93:94]
	v_mul_f64 v[93:94], v[12:13], s[6:7]
	v_add_f64 v[8:9], v[8:9], v[49:50]
	v_add_f64 v[32:33], v[32:33], v[51:52]
	;; [unrolled: 1-line block ×4, first 2 shown]
	v_fma_f64 v[53:54], v[95:96], s[36:37], -v[67:68]
	v_fma_f64 v[67:68], v[10:11], s[38:39], v[69:70]
	v_fma_f64 v[69:70], v[95:96], s[6:7], v[91:92]
	v_mul_f64 v[73:74], v[87:88], s[24:25]
	v_fma_f64 v[71:72], v[10:11], s[2:3], v[93:94]
	v_mul_f64 v[97:98], v[12:13], s[18:19]
	v_mul_f64 v[12:13], v[12:13], s[28:29]
	v_fma_f64 v[93:94], v[10:11], s[14:15], v[93:94]
	v_add_f64 v[44:45], v[53:54], v[44:45]
	v_add_f64 v[46:47], v[67:68], v[46:47]
	;; [unrolled: 1-line block ×3, first 2 shown]
	v_fma_f64 v[69:70], v[95:96], s[18:19], v[73:74]
	v_add_f64 v[67:68], v[71:72], v[77:78]
	v_fma_f64 v[71:72], v[10:11], s[22:23], v[97:98]
	v_mul_f64 v[75:76], v[87:88], s[26:27]
	v_fma_f64 v[73:74], v[95:96], s[18:19], -v[73:74]
	v_fma_f64 v[77:78], v[10:11], s[24:25], v[97:98]
	v_add_f64 v[38:39], v[103:104], v[38:39]
	v_fma_f64 v[91:92], v[95:96], s[6:7], -v[91:92]
	v_add_f64 v[69:70], v[69:70], v[79:80]
	v_add_f64 v[79:80], v[16:17], -v[30:31]
	v_add_f64 v[16:17], v[16:17], v[30:31]
	v_add_f64 v[71:72], v[71:72], v[81:82]
	v_fma_f64 v[30:31], v[95:96], s[28:29], v[75:76]
	v_fma_f64 v[81:82], v[10:11], s[30:31], v[12:13]
	v_add_f64 v[34:35], v[73:74], v[34:35]
	v_add_f64 v[73:74], v[77:78], v[83:84]
	;; [unrolled: 1-line block ×3, first 2 shown]
	v_add_f64 v[14:15], v[14:15], -v[28:29]
	v_mul_f64 v[28:29], v[79:80], s[26:27]
	v_mul_f64 v[83:84], v[16:17], s[28:29]
	v_add_f64 v[30:31], v[30:31], v[36:37]
	v_add_f64 v[36:37], v[81:82], v[42:43]
	v_fma_f64 v[42:43], v[95:96], s[28:29], -v[75:76]
	v_fma_f64 v[10:11], v[10:11], s[26:27], v[12:13]
	v_mul_f64 v[12:13], v[79:80], s[20:21]
	v_mul_f64 v[75:76], v[16:17], s[16:17]
	v_fma_f64 v[81:82], v[77:78], s[28:29], v[28:29]
	v_fma_f64 v[28:29], v[77:78], s[28:29], -v[28:29]
	v_fma_f64 v[87:88], v[14:15], s[30:31], v[83:84]
	v_fma_f64 v[83:84], v[14:15], s[26:27], v[83:84]
	v_add_f64 v[4:5], v[42:43], v[4:5]
	v_add_f64 v[6:7], v[10:11], v[6:7]
	v_fma_f64 v[10:11], v[77:78], s[16:17], v[12:13]
	v_fma_f64 v[42:43], v[14:15], s[8:9], v[75:76]
	v_fma_f64 v[12:13], v[77:78], s[16:17], -v[12:13]
	v_add_f64 v[8:9], v[28:29], v[8:9]
	v_mul_f64 v[28:29], v[79:80], s[24:25]
	v_fma_f64 v[75:76], v[14:15], s[20:21], v[75:76]
	v_add_f64 v[40:41], v[105:106], v[40:41]
	v_add_f64 v[32:33], v[83:84], v[32:33]
	v_mul_f64 v[83:84], v[16:17], s[18:19]
	v_add_f64 v[38:39], v[91:92], v[38:39]
	v_add_f64 v[81:82], v[81:82], v[85:86]
	;; [unrolled: 1-line block ×5, first 2 shown]
	v_mul_f64 v[49:50], v[79:80], s[34:35]
	v_mul_f64 v[51:52], v[16:17], s[36:37]
	v_fma_f64 v[87:88], v[77:78], s[18:19], v[28:29]
	v_fma_f64 v[28:29], v[77:78], s[18:19], -v[28:29]
	v_add_f64 v[44:45], v[12:13], v[44:45]
	v_add_f64 v[46:47], v[75:76], v[46:47]
	v_add_f64 v[75:76], v[63:64], -v[26:27]
	v_mul_f64 v[12:13], v[79:80], s[14:15]
	v_add_f64 v[40:41], v[93:94], v[40:41]
	v_fma_f64 v[89:90], v[14:15], s[22:23], v[83:84]
	v_fma_f64 v[83:84], v[14:15], s[24:25], v[83:84]
	v_add_f64 v[63:64], v[63:64], v[26:27]
	v_mul_f64 v[16:17], v[16:17], s[6:7]
	v_fma_f64 v[91:92], v[77:78], s[36:37], v[49:50]
	v_fma_f64 v[93:94], v[14:15], s[38:39], v[51:52]
	v_add_f64 v[38:39], v[28:29], v[38:39]
	v_fma_f64 v[26:27], v[77:78], s[36:37], -v[49:50]
	v_fma_f64 v[28:29], v[14:15], s[34:35], v[51:52]
	v_add_f64 v[49:50], v[18:19], v[65:66]
	v_add_f64 v[51:52], v[18:19], -v[65:66]
	v_mul_f64 v[18:19], v[75:76], s[34:35]
	v_fma_f64 v[79:80], v[77:78], s[6:7], v[12:13]
	v_add_f64 v[40:41], v[83:84], v[40:41]
	v_mul_f64 v[65:66], v[63:64], s[36:37]
	v_fma_f64 v[83:84], v[14:15], s[2:3], v[16:17]
	v_fma_f64 v[12:13], v[77:78], s[6:7], -v[12:13]
	v_fma_f64 v[14:15], v[14:15], s[14:15], v[16:17]
	v_add_f64 v[53:54], v[87:88], v[53:54]
	v_add_f64 v[87:88], v[26:27], v[34:35]
	v_fma_f64 v[16:17], v[49:50], s[36:37], v[18:19]
	v_add_f64 v[77:78], v[79:80], v[30:31]
	v_mul_f64 v[30:31], v[75:76], s[22:23]
	v_mul_f64 v[34:35], v[63:64], s[18:19]
	v_add_f64 v[67:68], v[89:90], v[67:68]
	v_add_f64 v[73:74], v[28:29], v[73:74]
	v_fma_f64 v[28:29], v[51:52], s[38:39], v[65:66]
	v_add_f64 v[79:80], v[83:84], v[36:37]
	v_add_f64 v[83:84], v[12:13], v[4:5]
	;; [unrolled: 1-line block ×3, first 2 shown]
	v_fma_f64 v[4:5], v[49:50], s[36:37], -v[18:19]
	v_fma_f64 v[6:7], v[51:52], s[34:35], v[65:66]
	v_mul_f64 v[36:37], v[75:76], s[26:27]
	v_mul_f64 v[65:66], v[63:64], s[28:29]
	v_add_f64 v[26:27], v[16:17], v[81:82]
	v_fma_f64 v[16:17], v[49:50], s[18:19], v[30:31]
	v_fma_f64 v[18:19], v[51:52], s[24:25], v[34:35]
	v_fma_f64 v[81:82], v[49:50], s[18:19], -v[30:31]
	v_fma_f64 v[34:35], v[51:52], s[22:23], v[34:35]
	v_add_f64 v[12:13], v[4:5], v[8:9]
	v_add_f64 v[14:15], v[6:7], v[32:33]
	v_fma_f64 v[4:5], v[49:50], s[28:29], v[36:37]
	v_fma_f64 v[6:7], v[51:52], s[30:31], v[65:66]
	v_add_f64 v[30:31], v[16:17], v[10:11]
	v_add_f64 v[32:33], v[18:19], v[42:43]
	v_add_f64 v[8:9], v[81:82], v[44:45]
	v_fma_f64 v[16:17], v[49:50], s[28:29], -v[36:37]
	v_fma_f64 v[18:19], v[51:52], s[26:27], v[65:66]
	v_mul_f64 v[42:43], v[75:76], s[14:15]
	v_mul_f64 v[44:45], v[63:64], s[6:7]
	v_add_f64 v[10:11], v[34:35], v[46:47]
	v_add_f64 v[34:35], v[4:5], v[53:54]
	;; [unrolled: 1-line block ×3, first 2 shown]
	v_mul_f64 v[4:5], v[75:76], s[8:9]
	v_mul_f64 v[6:7], v[63:64], s[16:17]
	v_add_f64 v[69:70], v[91:92], v[69:70]
	v_add_f64 v[71:72], v[93:94], v[71:72]
	;; [unrolled: 1-line block ×4, first 2 shown]
	v_fma_f64 v[38:39], v[49:50], s[6:7], v[42:43]
	v_fma_f64 v[40:41], v[51:52], s[2:3], v[44:45]
	v_fma_f64 v[42:43], v[49:50], s[6:7], -v[42:43]
	v_fma_f64 v[44:45], v[51:52], s[14:15], v[44:45]
	v_fma_f64 v[46:47], v[49:50], s[16:17], v[4:5]
	;; [unrolled: 1-line block ×3, first 2 shown]
	v_fma_f64 v[49:50], v[49:50], s[16:17], -v[4:5]
	v_fma_f64 v[51:52], v[51:52], s[8:9], v[6:7]
	v_add_f64 v[28:29], v[28:29], v[85:86]
	v_add_f64 v[38:39], v[38:39], v[69:70]
	;; [unrolled: 1-line block ×9, first 2 shown]
	ds_write_b128 v20, v[22:25]
	ds_write_b128 v20, v[26:29] offset:352
	ds_write_b128 v20, v[30:33] offset:704
	;; [unrolled: 1-line block ×10, first 2 shown]
	s_waitcnt lgkmcnt(0)
	s_barrier
	ds_read_b128 v[28:31], v62
	ds_read_b128 v[48:51], v62 offset:3872
	ds_read_b128 v[44:47], v62 offset:7744
	;; [unrolled: 1-line block ×6, first 2 shown]
	s_movk_i32 s2, 0x58
	v_cmp_gt_u32_e32 vcc, s2, v60
                                        ; implicit-def: $vgpr26_vgpr27
                                        ; implicit-def: $vgpr22_vgpr23
	s_and_saveexec_b64 s[2:3], vcc
	s_cbranch_execz .LBB0_27
; %bb.26:
	ds_read_b128 v[4:7], v62 offset:2464
	ds_read_b128 v[16:19], v62 offset:6336
	;; [unrolled: 1-line block ×7, first 2 shown]
.LBB0_27:
	s_or_b64 exec, exec, s[2:3]
	v_mul_u32_u24_e32 v63, 6, v60
	v_lshlrev_b32_e32 v87, 4, v63
	global_load_dwordx4 v[63:66], v87, s[12:13] offset:3696
	global_load_dwordx4 v[67:70], v87, s[12:13] offset:3712
	;; [unrolled: 1-line block ×6, first 2 shown]
	s_mov_b32 s8, 0x37e14327
	s_mov_b32 s14, 0x36b3c0b5
	s_mov_b32 s18, 0xe976ee23
	s_mov_b32 s9, 0x3fe948f6
	s_mov_b32 s15, 0x3fac98ee
	s_mov_b32 s19, 0x3fe11646
	s_mov_b32 s2, 0x429ad128
	s_mov_b32 s3, 0xbfebfeb5
	s_mov_b32 s6, 0xaaaaaaaa
	s_mov_b32 s16, 0x5476071b
	s_mov_b32 s24, 0xb247c609
	s_mov_b32 s7, 0xbff2aaaa
	s_mov_b32 s17, 0x3fe77f67
	s_mov_b32 s23, 0xbfe77f67
	s_mov_b32 s25, 0xbfd5d0dc
	s_mov_b32 s22, s16
	s_mov_b32 s27, 0x3fd5d0dc
	s_mov_b32 s26, s24
	s_mov_b32 s20, 0x37c3f68c
	s_mov_b32 s21, 0xbfdc38aa
	s_waitcnt vmcnt(0) lgkmcnt(0)
	s_barrier
	v_mul_f64 v[87:88], v[50:51], v[65:66]
	v_mul_f64 v[65:66], v[48:49], v[65:66]
	;; [unrolled: 1-line block ×12, first 2 shown]
	v_fma_f64 v[48:49], v[48:49], v[63:64], v[87:88]
	v_fma_f64 v[50:51], v[50:51], v[63:64], -v[65:66]
	v_fma_f64 v[44:45], v[44:45], v[67:68], v[89:90]
	v_fma_f64 v[46:47], v[46:47], v[67:68], -v[69:70]
	;; [unrolled: 2-line block ×6, first 2 shown]
	v_add_f64 v[63:64], v[48:49], v[52:53]
	v_add_f64 v[65:66], v[50:51], v[54:55]
	v_add_f64 v[48:49], v[48:49], -v[52:53]
	v_add_f64 v[50:51], v[50:51], -v[54:55]
	v_add_f64 v[52:53], v[44:45], v[40:41]
	v_add_f64 v[54:55], v[46:47], v[42:43]
	v_add_f64 v[40:41], v[44:45], -v[40:41]
	v_add_f64 v[42:43], v[46:47], -v[42:43]
	;; [unrolled: 4-line block ×4, first 2 shown]
	v_add_f64 v[63:64], v[63:64], -v[44:45]
	v_add_f64 v[65:66], v[65:66], -v[46:47]
	;; [unrolled: 1-line block ×4, first 2 shown]
	v_add_f64 v[71:72], v[32:33], v[40:41]
	v_add_f64 v[73:74], v[34:35], v[42:43]
	v_add_f64 v[75:76], v[32:33], -v[40:41]
	v_add_f64 v[77:78], v[34:35], -v[42:43]
	v_add_f64 v[36:37], v[44:45], v[36:37]
	v_add_f64 v[38:39], v[46:47], v[38:39]
	v_add_f64 v[40:41], v[40:41], -v[48:49]
	v_add_f64 v[42:43], v[42:43], -v[50:51]
	;; [unrolled: 1-line block ×4, first 2 shown]
	v_add_f64 v[44:45], v[71:72], v[48:49]
	v_add_f64 v[46:47], v[73:74], v[50:51]
	v_mul_f64 v[48:49], v[63:64], s[8:9]
	v_mul_f64 v[50:51], v[65:66], s[8:9]
	;; [unrolled: 1-line block ×6, first 2 shown]
	v_add_f64 v[28:29], v[28:29], v[36:37]
	v_add_f64 v[30:31], v[30:31], v[38:39]
	v_mul_f64 v[75:76], v[40:41], s[2:3]
	v_mul_f64 v[77:78], v[42:43], s[2:3]
	v_fma_f64 v[52:53], v[52:53], s[14:15], v[48:49]
	v_fma_f64 v[54:55], v[54:55], s[14:15], v[50:51]
	v_fma_f64 v[63:64], v[67:68], s[16:17], -v[63:64]
	v_fma_f64 v[65:66], v[69:70], s[16:17], -v[65:66]
	;; [unrolled: 1-line block ×4, first 2 shown]
	v_fma_f64 v[67:68], v[32:33], s[24:25], v[71:72]
	v_fma_f64 v[69:70], v[34:35], s[24:25], v[73:74]
	;; [unrolled: 1-line block ×4, first 2 shown]
	v_fma_f64 v[32:33], v[32:33], s[26:27], -v[75:76]
	v_fma_f64 v[34:35], v[34:35], s[26:27], -v[77:78]
	;; [unrolled: 1-line block ×4, first 2 shown]
	v_fma_f64 v[67:68], v[44:45], s[20:21], v[67:68]
	v_fma_f64 v[69:70], v[46:47], s[20:21], v[69:70]
	v_add_f64 v[52:53], v[52:53], v[36:37]
	v_add_f64 v[54:55], v[54:55], v[38:39]
	v_fma_f64 v[75:76], v[44:45], s[20:21], v[32:33]
	v_fma_f64 v[77:78], v[46:47], s[20:21], v[34:35]
	v_add_f64 v[48:49], v[48:49], v[36:37]
	v_add_f64 v[50:51], v[50:51], v[38:39]
	;; [unrolled: 4-line block ×3, first 2 shown]
	v_add_f64 v[32:33], v[69:70], v[52:53]
	v_add_f64 v[34:35], v[54:55], -v[67:68]
	v_add_f64 v[36:37], v[77:78], v[48:49]
	v_add_f64 v[38:39], v[50:51], -v[75:76]
	v_add_f64 v[48:49], v[48:49], -v[77:78]
	v_add_f64 v[50:51], v[75:76], v[50:51]
	v_add_f64 v[40:41], v[44:45], -v[73:74]
	v_add_f64 v[42:43], v[71:72], v[46:47]
	v_add_f64 v[44:45], v[73:74], v[44:45]
	v_add_f64 v[46:47], v[46:47], -v[71:72]
	v_add_f64 v[52:53], v[52:53], -v[69:70]
	v_add_f64 v[54:55], v[67:68], v[54:55]
	ds_write_b128 v62, v[28:31]
	ds_write_b128 v62, v[32:35] offset:3872
	ds_write_b128 v62, v[36:39] offset:7744
	;; [unrolled: 1-line block ×6, first 2 shown]
	s_and_saveexec_b64 s[28:29], vcc
	s_cbranch_execz .LBB0_29
; %bb.28:
	v_add_u32_e32 v28, 0xffffffa8, v60
	v_cndmask_b32_e32 v28, v28, v61, vcc
	v_mul_i32_i24_e32 v28, 6, v28
	v_mov_b32_e32 v29, 0
	v_lshlrev_b64 v[28:29], 4, v[28:29]
	v_mov_b32_e32 v30, s13
	v_add_co_u32_e32 v52, vcc, s12, v28
	v_addc_co_u32_e32 v53, vcc, v30, v29, vcc
	global_load_dwordx4 v[28:31], v[52:53], off offset:3744
	global_load_dwordx4 v[32:35], v[52:53], off offset:3728
	;; [unrolled: 1-line block ×6, first 2 shown]
	s_waitcnt vmcnt(5)
	v_mul_f64 v[52:53], v[2:3], v[30:31]
	s_waitcnt vmcnt(4)
	v_mul_f64 v[54:55], v[14:15], v[34:35]
	;; [unrolled: 2-line block ×6, first 2 shown]
	v_mul_f64 v[38:39], v[8:9], v[38:39]
	v_mul_f64 v[42:43], v[20:21], v[42:43]
	;; [unrolled: 1-line block ×6, first 2 shown]
	v_fma_f64 v[0:1], v[0:1], v[28:29], v[52:53]
	v_fma_f64 v[12:13], v[12:13], v[32:33], v[54:55]
	;; [unrolled: 1-line block ×6, first 2 shown]
	v_fma_f64 v[10:11], v[10:11], v[36:37], -v[38:39]
	v_fma_f64 v[22:23], v[22:23], v[40:41], -v[42:43]
	v_fma_f64 v[18:19], v[18:19], v[44:45], -v[46:47]
	v_fma_f64 v[26:27], v[26:27], v[48:49], -v[50:51]
	v_fma_f64 v[14:15], v[14:15], v[32:33], -v[34:35]
	v_fma_f64 v[2:3], v[2:3], v[28:29], -v[30:31]
	v_add_f64 v[28:29], v[0:1], -v[12:13]
	v_add_f64 v[30:31], v[8:9], -v[20:21]
	v_add_f64 v[0:1], v[12:13], v[0:1]
	v_add_f64 v[36:37], v[10:11], v[22:23]
	v_add_f64 v[8:9], v[8:9], v[20:21]
	v_add_f64 v[38:39], v[18:19], v[26:27]
	v_add_f64 v[12:13], v[16:17], v[24:25]
	v_add_f64 v[32:33], v[16:17], -v[24:25]
	v_add_f64 v[34:35], v[14:15], v[2:3]
	v_add_f64 v[2:3], v[2:3], -v[14:15]
	v_add_f64 v[10:11], v[10:11], -v[22:23]
	;; [unrolled: 1-line block ×3, first 2 shown]
	v_add_f64 v[16:17], v[28:29], v[30:31]
	v_add_f64 v[26:27], v[36:37], v[38:39]
	;; [unrolled: 1-line block ×3, first 2 shown]
	v_add_f64 v[18:19], v[28:29], -v[30:31]
	v_add_f64 v[20:21], v[32:33], -v[28:29]
	;; [unrolled: 1-line block ×9, first 2 shown]
	v_add_f64 v[26:27], v[34:35], v[26:27]
	v_add_f64 v[38:39], v[0:1], v[42:43]
	;; [unrolled: 1-line block ×3, first 2 shown]
	v_add_f64 v[10:11], v[10:11], -v[14:15]
	v_add_f64 v[48:49], v[14:15], -v[2:3]
	;; [unrolled: 1-line block ×3, first 2 shown]
	v_add_f64 v[12:13], v[16:17], v[32:33]
	v_mul_f64 v[16:17], v[18:19], s[18:19]
	v_mul_f64 v[24:25], v[24:25], s[8:9]
	;; [unrolled: 1-line block ×6, first 2 shown]
	v_add_f64 v[2:3], v[6:7], v[26:27]
	v_add_f64 v[0:1], v[4:5], v[38:39]
	;; [unrolled: 1-line block ×3, first 2 shown]
	v_mul_f64 v[44:45], v[10:11], s[2:3]
	v_mul_f64 v[18:19], v[22:23], s[14:15]
	v_fma_f64 v[46:47], v[20:21], s[24:25], v[16:17]
	v_fma_f64 v[22:23], v[22:23], s[14:15], v[24:25]
	;; [unrolled: 1-line block ×4, first 2 shown]
	v_fma_f64 v[20:21], v[20:21], s[26:27], -v[42:43]
	v_fma_f64 v[28:29], v[8:9], s[22:23], -v[34:35]
	;; [unrolled: 1-line block ×3, first 2 shown]
	v_fma_f64 v[26:27], v[26:27], s[6:7], v[2:3]
	v_fma_f64 v[8:9], v[8:9], s[16:17], -v[32:33]
	v_fma_f64 v[32:33], v[38:39], s[6:7], v[0:1]
	v_fma_f64 v[24:25], v[36:37], s[22:23], -v[24:25]
	v_fma_f64 v[34:35], v[48:49], s[26:27], -v[44:45]
	;; [unrolled: 1-line block ×4, first 2 shown]
	v_fma_f64 v[30:31], v[12:13], s[20:21], v[46:47]
	v_fma_f64 v[4:5], v[14:15], s[20:21], v[4:5]
	;; [unrolled: 1-line block ×4, first 2 shown]
	v_add_f64 v[16:17], v[22:23], v[26:27]
	v_add_f64 v[38:39], v[6:7], v[32:33]
	;; [unrolled: 1-line block ×3, first 2 shown]
	v_fma_f64 v[34:35], v[14:15], s[20:21], v[34:35]
	v_add_f64 v[28:29], v[28:29], v[32:33]
	v_add_f64 v[18:19], v[18:19], v[26:27]
	v_fma_f64 v[36:37], v[14:15], s[20:21], v[10:11]
	v_add_f64 v[8:9], v[8:9], v[32:33]
	v_add_f64 v[26:27], v[16:17], -v[30:31]
	v_add_f64 v[24:25], v[4:5], v[38:39]
	v_add_f64 v[10:11], v[20:21], v[22:23]
	v_add_f64 v[22:23], v[22:23], -v[20:21]
	v_add_f64 v[20:21], v[34:35], v[28:29]
	;; [unrolled: 3-line block ×3, first 2 shown]
	v_add_f64 v[16:17], v[8:9], -v[36:37]
	v_add_f64 v[12:13], v[36:37], v[8:9]
	v_add_f64 v[8:9], v[28:29], -v[34:35]
	v_add_f64 v[4:5], v[38:39], -v[4:5]
	ds_write_b128 v62, v[0:3] offset:2464
	ds_write_b128 v62, v[24:27] offset:6336
	;; [unrolled: 1-line block ×7, first 2 shown]
.LBB0_29:
	s_or_b64 exec, exec, s[28:29]
	s_waitcnt lgkmcnt(0)
	s_barrier
	s_and_saveexec_b64 s[2:3], s[0:1]
	s_cbranch_execz .LBB0_31
; %bb.30:
	v_mul_lo_u32 v0, s5, v58
	v_mul_lo_u32 v1, s4, v59
	v_mad_u64_u32 v[4:5], s[0:1], s4, v58, 0
	v_mov_b32_e32 v6, s11
	v_lshl_add_u32 v10, v60, 4, 0
	v_add3_u32 v5, v5, v1, v0
	v_lshlrev_b64 v[4:5], 4, v[4:5]
	v_mov_b32_e32 v61, 0
	v_add_co_u32_e32 v7, vcc, s10, v4
	v_addc_co_u32_e32 v6, vcc, v6, v5, vcc
	v_lshlrev_b64 v[4:5], 4, v[56:57]
	ds_read_b128 v[0:3], v10
	v_add_co_u32_e32 v11, vcc, v7, v4
	v_addc_co_u32_e32 v12, vcc, v6, v5, vcc
	v_lshlrev_b64 v[4:5], 4, v[60:61]
	v_add_co_u32_e32 v8, vcc, v11, v4
	v_addc_co_u32_e32 v9, vcc, v12, v5, vcc
	ds_read_b128 v[4:7], v10 offset:2464
	s_waitcnt lgkmcnt(1)
	global_store_dwordx4 v[8:9], v[0:3], off
	s_nop 0
	v_add_u32_e32 v0, 0x9a, v60
	v_mov_b32_e32 v1, v61
	v_lshlrev_b64 v[0:1], 4, v[0:1]
	v_add_co_u32_e32 v0, vcc, v11, v0
	v_addc_co_u32_e32 v1, vcc, v12, v1, vcc
	s_waitcnt lgkmcnt(0)
	global_store_dwordx4 v[0:1], v[4:7], off
	ds_read_b128 v[0:3], v10 offset:4928
	v_add_u32_e32 v4, 0x134, v60
	v_mov_b32_e32 v5, v61
	v_lshlrev_b64 v[4:5], 4, v[4:5]
	v_add_co_u32_e32 v8, vcc, v11, v4
	v_addc_co_u32_e32 v9, vcc, v12, v5, vcc
	ds_read_b128 v[4:7], v10 offset:7392
	s_waitcnt lgkmcnt(1)
	global_store_dwordx4 v[8:9], v[0:3], off
	s_nop 0
	v_add_u32_e32 v0, 0x1ce, v60
	v_mov_b32_e32 v1, v61
	v_lshlrev_b64 v[0:1], 4, v[0:1]
	v_add_co_u32_e32 v0, vcc, v11, v0
	v_addc_co_u32_e32 v1, vcc, v12, v1, vcc
	s_waitcnt lgkmcnt(0)
	global_store_dwordx4 v[0:1], v[4:7], off
	ds_read_b128 v[0:3], v10 offset:9856
	v_add_u32_e32 v4, 0x268, v60
	v_mov_b32_e32 v5, v61
	;; [unrolled: 17-line block ×4, first 2 shown]
	v_lshlrev_b64 v[4:5], 4, v[4:5]
	v_add_co_u32_e32 v8, vcc, v11, v4
	v_addc_co_u32_e32 v9, vcc, v12, v5, vcc
	ds_read_b128 v[4:7], v10 offset:22176
	s_waitcnt lgkmcnt(1)
	global_store_dwordx4 v[8:9], v[0:3], off
	s_nop 0
	v_add_u32_e32 v0, 0x56a, v60
	v_mov_b32_e32 v1, v61
	v_lshlrev_b64 v[0:1], 4, v[0:1]
	v_add_u32_e32 v60, 0x604, v60
	v_add_co_u32_e32 v0, vcc, v11, v0
	v_addc_co_u32_e32 v1, vcc, v12, v1, vcc
	s_waitcnt lgkmcnt(0)
	global_store_dwordx4 v[0:1], v[4:7], off
	ds_read_b128 v[0:3], v10 offset:24640
	v_lshlrev_b64 v[4:5], 4, v[60:61]
	v_add_co_u32_e32 v4, vcc, v11, v4
	v_addc_co_u32_e32 v5, vcc, v12, v5, vcc
	s_waitcnt lgkmcnt(0)
	global_store_dwordx4 v[4:5], v[0:3], off
.LBB0_31:
	s_endpgm
	.section	.rodata,"a",@progbits
	.p2align	6, 0x0
	.amdhsa_kernel fft_rtc_back_len1694_factors_11_2_11_7_wgs_154_tpt_154_halfLds_dp_op_CI_CI_unitstride_sbrr_C2R_dirReg
		.amdhsa_group_segment_fixed_size 0
		.amdhsa_private_segment_fixed_size 0
		.amdhsa_kernarg_size 104
		.amdhsa_user_sgpr_count 6
		.amdhsa_user_sgpr_private_segment_buffer 1
		.amdhsa_user_sgpr_dispatch_ptr 0
		.amdhsa_user_sgpr_queue_ptr 0
		.amdhsa_user_sgpr_kernarg_segment_ptr 1
		.amdhsa_user_sgpr_dispatch_id 0
		.amdhsa_user_sgpr_flat_scratch_init 0
		.amdhsa_user_sgpr_private_segment_size 0
		.amdhsa_uses_dynamic_stack 0
		.amdhsa_system_sgpr_private_segment_wavefront_offset 0
		.amdhsa_system_sgpr_workgroup_id_x 1
		.amdhsa_system_sgpr_workgroup_id_y 0
		.amdhsa_system_sgpr_workgroup_id_z 0
		.amdhsa_system_sgpr_workgroup_info 0
		.amdhsa_system_vgpr_workitem_id 0
		.amdhsa_next_free_vgpr 117
		.amdhsa_next_free_sgpr 40
		.amdhsa_reserve_vcc 1
		.amdhsa_reserve_flat_scratch 0
		.amdhsa_float_round_mode_32 0
		.amdhsa_float_round_mode_16_64 0
		.amdhsa_float_denorm_mode_32 3
		.amdhsa_float_denorm_mode_16_64 3
		.amdhsa_dx10_clamp 1
		.amdhsa_ieee_mode 1
		.amdhsa_fp16_overflow 0
		.amdhsa_exception_fp_ieee_invalid_op 0
		.amdhsa_exception_fp_denorm_src 0
		.amdhsa_exception_fp_ieee_div_zero 0
		.amdhsa_exception_fp_ieee_overflow 0
		.amdhsa_exception_fp_ieee_underflow 0
		.amdhsa_exception_fp_ieee_inexact 0
		.amdhsa_exception_int_div_zero 0
	.end_amdhsa_kernel
	.text
.Lfunc_end0:
	.size	fft_rtc_back_len1694_factors_11_2_11_7_wgs_154_tpt_154_halfLds_dp_op_CI_CI_unitstride_sbrr_C2R_dirReg, .Lfunc_end0-fft_rtc_back_len1694_factors_11_2_11_7_wgs_154_tpt_154_halfLds_dp_op_CI_CI_unitstride_sbrr_C2R_dirReg
                                        ; -- End function
	.section	.AMDGPU.csdata,"",@progbits
; Kernel info:
; codeLenInByte = 12660
; NumSgprs: 44
; NumVgprs: 117
; ScratchSize: 0
; MemoryBound: 0
; FloatMode: 240
; IeeeMode: 1
; LDSByteSize: 0 bytes/workgroup (compile time only)
; SGPRBlocks: 5
; VGPRBlocks: 29
; NumSGPRsForWavesPerEU: 44
; NumVGPRsForWavesPerEU: 117
; Occupancy: 2
; WaveLimiterHint : 1
; COMPUTE_PGM_RSRC2:SCRATCH_EN: 0
; COMPUTE_PGM_RSRC2:USER_SGPR: 6
; COMPUTE_PGM_RSRC2:TRAP_HANDLER: 0
; COMPUTE_PGM_RSRC2:TGID_X_EN: 1
; COMPUTE_PGM_RSRC2:TGID_Y_EN: 0
; COMPUTE_PGM_RSRC2:TGID_Z_EN: 0
; COMPUTE_PGM_RSRC2:TIDIG_COMP_CNT: 0
	.type	__hip_cuid_adbe4ec2b7f39413,@object ; @__hip_cuid_adbe4ec2b7f39413
	.section	.bss,"aw",@nobits
	.globl	__hip_cuid_adbe4ec2b7f39413
__hip_cuid_adbe4ec2b7f39413:
	.byte	0                               ; 0x0
	.size	__hip_cuid_adbe4ec2b7f39413, 1

	.ident	"AMD clang version 19.0.0git (https://github.com/RadeonOpenCompute/llvm-project roc-6.4.0 25133 c7fe45cf4b819c5991fe208aaa96edf142730f1d)"
	.section	".note.GNU-stack","",@progbits
	.addrsig
	.addrsig_sym __hip_cuid_adbe4ec2b7f39413
	.amdgpu_metadata
---
amdhsa.kernels:
  - .args:
      - .actual_access:  read_only
        .address_space:  global
        .offset:         0
        .size:           8
        .value_kind:     global_buffer
      - .offset:         8
        .size:           8
        .value_kind:     by_value
      - .actual_access:  read_only
        .address_space:  global
        .offset:         16
        .size:           8
        .value_kind:     global_buffer
      - .actual_access:  read_only
        .address_space:  global
        .offset:         24
        .size:           8
        .value_kind:     global_buffer
      - .actual_access:  read_only
        .address_space:  global
        .offset:         32
        .size:           8
        .value_kind:     global_buffer
      - .offset:         40
        .size:           8
        .value_kind:     by_value
      - .actual_access:  read_only
        .address_space:  global
        .offset:         48
        .size:           8
        .value_kind:     global_buffer
      - .actual_access:  read_only
        .address_space:  global
        .offset:         56
        .size:           8
        .value_kind:     global_buffer
      - .offset:         64
        .size:           4
        .value_kind:     by_value
      - .actual_access:  read_only
        .address_space:  global
        .offset:         72
        .size:           8
        .value_kind:     global_buffer
      - .actual_access:  read_only
        .address_space:  global
        .offset:         80
        .size:           8
        .value_kind:     global_buffer
      - .actual_access:  read_only
        .address_space:  global
        .offset:         88
        .size:           8
        .value_kind:     global_buffer
      - .actual_access:  write_only
        .address_space:  global
        .offset:         96
        .size:           8
        .value_kind:     global_buffer
    .group_segment_fixed_size: 0
    .kernarg_segment_align: 8
    .kernarg_segment_size: 104
    .language:       OpenCL C
    .language_version:
      - 2
      - 0
    .max_flat_workgroup_size: 154
    .name:           fft_rtc_back_len1694_factors_11_2_11_7_wgs_154_tpt_154_halfLds_dp_op_CI_CI_unitstride_sbrr_C2R_dirReg
    .private_segment_fixed_size: 0
    .sgpr_count:     44
    .sgpr_spill_count: 0
    .symbol:         fft_rtc_back_len1694_factors_11_2_11_7_wgs_154_tpt_154_halfLds_dp_op_CI_CI_unitstride_sbrr_C2R_dirReg.kd
    .uniform_work_group_size: 1
    .uses_dynamic_stack: false
    .vgpr_count:     117
    .vgpr_spill_count: 0
    .wavefront_size: 64
amdhsa.target:   amdgcn-amd-amdhsa--gfx906
amdhsa.version:
  - 1
  - 2
...

	.end_amdgpu_metadata
